;; amdgpu-corpus repo=ROCm/rocFFT kind=compiled arch=gfx1030 opt=O3
	.text
	.amdgcn_target "amdgcn-amd-amdhsa--gfx1030"
	.amdhsa_code_object_version 6
	.protected	bluestein_single_fwd_len51_dim1_sp_op_CI_CI ; -- Begin function bluestein_single_fwd_len51_dim1_sp_op_CI_CI
	.globl	bluestein_single_fwd_len51_dim1_sp_op_CI_CI
	.p2align	8
	.type	bluestein_single_fwd_len51_dim1_sp_op_CI_CI,@function
bluestein_single_fwd_len51_dim1_sp_op_CI_CI: ; @bluestein_single_fwd_len51_dim1_sp_op_CI_CI
; %bb.0:
	s_load_dwordx4 s[0:3], s[4:5], 0x28
	v_mul_u32_u24_e32 v1, 0xf10, v0
	v_lshrrev_b32_e32 v1, 16, v1
	v_mad_u64_u32 v[60:61], null, s6, 15, v[1:2]
	v_mov_b32_e32 v61, 0
	s_waitcnt lgkmcnt(0)
	v_cmp_gt_u64_e32 vcc_lo, s[0:1], v[60:61]
	s_and_saveexec_b32 s0, vcc_lo
	s_cbranch_execz .LBB0_15
; %bb.1:
	v_mul_hi_u32 v2, 0x88888889, v60
	v_mul_lo_u16 v1, v1, 17
	s_clause 0x1
	s_load_dwordx2 s[6:7], s[4:5], 0x0
	s_load_dwordx2 s[12:13], s[4:5], 0x38
	v_sub_nc_u16 v0, v0, v1
	v_lshrrev_b32_e32 v2, 3, v2
	v_and_b32_e32 v69, 0xffff, v0
	v_cmp_gt_u16_e32 vcc_lo, 3, v0
	v_mul_lo_u32 v2, v2, 15
	v_lshlrev_b32_e32 v64, 3, v69
	v_or_b32_e32 v67, 12, v69
	v_or_b32_e32 v66, 24, v69
	;; [unrolled: 1-line block ×4, first 2 shown]
	v_sub_nc_u32_e32 v1, v60, v2
	v_mul_u32_u24_e32 v68, 51, v1
	v_lshlrev_b32_e32 v70, 3, v68
	s_and_saveexec_b32 s1, vcc_lo
	s_cbranch_execz .LBB0_3
; %bb.2:
	s_load_dwordx2 s[8:9], s[4:5], 0x18
	v_lshl_add_u32 v81, v69, 3, v70
	v_add_nc_u32_e32 v82, v70, v64
	s_waitcnt lgkmcnt(0)
	s_load_dwordx4 s[8:11], s[8:9], 0x0
	s_clause 0x6
	global_load_dwordx2 v[0:1], v64, s[6:7] offset:96
	global_load_dwordx2 v[2:3], v64, s[6:7] offset:192
	;; [unrolled: 1-line block ×3, first 2 shown]
	global_load_dwordx2 v[6:7], v64, s[6:7]
	global_load_dwordx2 v[8:9], v64, s[6:7] offset:24
	global_load_dwordx2 v[10:11], v64, s[6:7] offset:48
	;; [unrolled: 1-line block ×3, first 2 shown]
	s_waitcnt lgkmcnt(0)
	v_mad_u64_u32 v[14:15], null, s10, v60, 0
	v_mad_u64_u32 v[16:17], null, s8, v69, 0
	;; [unrolled: 1-line block ×9, first 2 shown]
	v_mov_b32_e32 v15, v26
	v_mad_u64_u32 v[29:30], null, s9, v66, v[21:22]
	v_mad_u64_u32 v[30:31], null, s9, v65, v[23:24]
	;; [unrolled: 1-line block ×3, first 2 shown]
	v_mov_b32_e32 v17, v27
	v_lshlrev_b64 v[14:15], 3, v[14:15]
	v_mov_b32_e32 v19, v28
	s_mul_i32 s0, s9, 24
	s_mul_hi_u32 s10, s8, 24
	v_lshlrev_b64 v[16:17], 3, v[16:17]
	s_add_i32 s10, s10, s0
	v_mov_b32_e32 v21, v29
	v_mov_b32_e32 v23, v30
	v_add_co_u32 v30, s0, s2, v14
	v_mov_b32_e32 v25, v31
	v_lshlrev_b64 v[18:19], 3, v[18:19]
	v_add_co_ci_u32_e64 v31, s0, s3, v15, s0
	v_lshlrev_b64 v[20:21], 3, v[20:21]
	v_add_co_u32 v16, s0, v30, v16
	v_add_co_ci_u32_e64 v17, s0, v31, v17, s0
	v_lshlrev_b64 v[22:23], 3, v[22:23]
	v_add_co_u32 v18, s0, v30, v18
	v_add_co_ci_u32_e64 v19, s0, v31, v19, s0
	v_add_co_u32 v20, s0, v30, v20
	v_add_co_ci_u32_e64 v21, s0, v31, v21, s0
	v_add_co_u32 v22, s0, v30, v22
	s_mul_i32 s14, s8, 24
	v_add_co_ci_u32_e64 v23, s0, v31, v23, s0
	v_lshlrev_b64 v[14:15], 3, v[24:25]
	s_clause 0x1
	global_load_dwordx2 v[24:25], v[16:17], off
	global_load_dwordx2 v[18:19], v[18:19], off
	v_add_co_u32 v16, s0, v16, s14
	v_add_co_ci_u32_e64 v17, s0, s10, v17, s0
	s_mul_i32 s9, s9, 48
	v_add_co_u32 v26, s0, v16, s14
	v_add_co_ci_u32_e64 v27, s0, s10, v17, s0
	s_mul_i32 s2, s8, 48
	v_add_co_u32 v28, s0, v26, s14
	v_add_co_ci_u32_e64 v29, s0, s10, v27, s0
	v_add_co_u32 v14, s0, v30, v14
	v_add_co_ci_u32_e64 v15, s0, v31, v15, s0
	s_mul_hi_u32 s0, s8, 48
	s_clause 0x1
	global_load_dwordx2 v[20:21], v[20:21], off
	global_load_dwordx2 v[22:23], v[22:23], off
	s_add_i32 s3, s0, s9
	v_add_co_u32 v32, s0, v28, s2
	v_add_co_ci_u32_e64 v33, s0, s3, v29, s0
	global_load_dwordx2 v[30:31], v64, s[6:7] offset:384
	s_clause 0x3
	global_load_dwordx2 v[14:15], v[14:15], off
	global_load_dwordx2 v[16:17], v[16:17], off
	;; [unrolled: 1-line block ×4, first 2 shown]
	s_clause 0x2
	global_load_dwordx2 v[34:35], v64, s[6:7] offset:120
	global_load_dwordx2 v[36:37], v64, s[6:7] offset:144
	;; [unrolled: 1-line block ×3, first 2 shown]
	global_load_dwordx2 v[40:41], v[32:33], off
	v_add_co_u32 v32, s0, v32, s14
	v_add_co_ci_u32_e64 v33, s0, s10, v33, s0
	s_clause 0x2
	global_load_dwordx2 v[42:43], v64, s[6:7] offset:216
	global_load_dwordx2 v[44:45], v64, s[6:7] offset:240
	;; [unrolled: 1-line block ×3, first 2 shown]
	v_add_co_u32 v48, s0, v32, s14
	v_add_co_ci_u32_e64 v49, s0, s10, v33, s0
	global_load_dwordx2 v[32:33], v[32:33], off
	v_add_co_u32 v52, s0, v48, s2
	v_add_co_ci_u32_e64 v53, s0, s3, v49, s0
	global_load_dwordx2 v[48:49], v[48:49], off
	v_add_co_u32 v54, s0, v52, s14
	v_add_co_ci_u32_e64 v55, s0, s10, v53, s0
	global_load_dwordx2 v[50:51], v64, s[6:7] offset:312
	v_add_co_u32 v56, s0, v54, s14
	v_add_co_ci_u32_e64 v57, s0, s10, v55, s0
	global_load_dwordx2 v[52:53], v[52:53], off
	global_load_dwordx2 v[54:55], v[54:55], off
	v_add_co_u32 v58, s0, v56, s2
	v_add_co_ci_u32_e64 v59, s0, s3, v57, s0
	global_load_dwordx2 v[56:57], v[56:57], off
	v_add_co_u32 v61, s0, v58, s14
	v_add_co_ci_u32_e64 v62, s0, s10, v59, s0
	global_load_dwordx2 v[58:59], v[58:59], off
	v_add_co_u32 v71, s0, v61, s14
	v_add_co_ci_u32_e64 v72, s0, s10, v62, s0
	global_load_dwordx2 v[61:62], v[61:62], off
	s_clause 0x1
	global_load_dwordx2 v[73:74], v64, s[6:7] offset:336
	global_load_dwordx2 v[75:76], v64, s[6:7] offset:360
	global_load_dwordx2 v[71:72], v[71:72], off
	s_waitcnt vmcnt(26)
	v_mul_f32_e32 v77, v25, v7
	s_waitcnt vmcnt(25)
	v_mul_f32_e32 v79, v19, v1
	v_mul_f32_e32 v80, v18, v1
	;; [unrolled: 1-line block ×3, first 2 shown]
	v_fmac_f32_e32 v77, v24, v6
	v_fmac_f32_e32 v79, v18, v0
	v_fma_f32 v80, v19, v0, -v80
	v_fma_f32 v78, v25, v6, -v7
	ds_write_b64 v81, v[77:78]
	s_waitcnt vmcnt(24)
	v_mul_f32_e32 v1, v21, v3
	s_waitcnt vmcnt(23)
	v_mul_f32_e32 v84, v22, v5
	;; [unrolled: 2-line block ×3, first 2 shown]
	v_mul_f32_e32 v18, v17, v9
	s_waitcnt vmcnt(19)
	v_mul_f32_e32 v9, v26, v11
	v_mul_f32_e32 v7, v27, v11
	;; [unrolled: 1-line block ×3, first 2 shown]
	v_fma_f32 v19, v17, v8, -v0
	s_waitcnt vmcnt(18)
	v_mul_f32_e32 v0, v28, v13
	v_fmac_f32_e32 v18, v16, v8
	v_fma_f32 v8, v27, v10, -v9
	v_fmac_f32_e32 v7, v26, v10
	v_fma_f32 v6, v23, v4, -v84
	v_fmac_f32_e32 v5, v22, v4
	v_mul_f32_e32 v9, v29, v13
	v_fma_f32 v10, v29, v12, -v0
	s_waitcnt vmcnt(14)
	v_mul_f32_e32 v0, v40, v35
	ds_write2_b64 v82, v[18:19], v[7:8] offset0:3 offset1:6
	s_waitcnt vmcnt(10)
	v_mul_f32_e32 v4, v32, v37
	v_mul_f32_e32 v7, v41, v35
	;; [unrolled: 1-line block ×5, first 2 shown]
	v_fmac_f32_e32 v9, v28, v12
	v_fma_f32 v8, v41, v34, -v0
	v_fma_f32 v12, v33, v36, -v4
	s_waitcnt vmcnt(9)
	v_mul_f32_e32 v0, v48, v39
	v_fmac_f32_e32 v7, v40, v34
	v_fmac_f32_e32 v11, v32, v36
	v_mul_f32_e32 v31, v14, v31
	v_fmac_f32_e32 v3, v14, v30
	ds_write2_b64 v82, v[9:10], v[79:80] offset0:9 offset1:12
	s_waitcnt vmcnt(7)
	v_mul_f32_e32 v4, v52, v43
	v_fma_f32 v10, v49, v38, -v0
	s_waitcnt vmcnt(6)
	v_mul_f32_e32 v0, v54, v45
	v_mul_f32_e32 v9, v49, v39
	;; [unrolled: 1-line block ×3, first 2 shown]
	v_fma_f32 v14, v53, v42, -v4
	s_waitcnt vmcnt(5)
	v_mul_f32_e32 v4, v56, v47
	ds_write2_b64 v82, v[7:8], v[11:12] offset0:15 offset1:18
	v_mul_f32_e32 v7, v55, v45
	v_mul_f32_e32 v11, v57, v47
	v_fma_f32 v8, v55, v44, -v0
	s_waitcnt vmcnt(4)
	v_mul_f32_e32 v16, v59, v51
	v_fma_f32 v12, v57, v46, -v4
	v_mul_f32_e32 v0, v58, v51
	s_waitcnt vmcnt(2)
	v_mul_f32_e32 v18, v62, v74
	v_mul_f32_e32 v4, v61, v74
	v_fmac_f32_e32 v1, v20, v2
	v_fma_f32 v2, v21, v2, -v83
	s_waitcnt vmcnt(0)
	v_mul_f32_e32 v20, v72, v76
	v_mul_f32_e32 v21, v71, v76
	v_fmac_f32_e32 v9, v48, v38
	v_fmac_f32_e32 v13, v52, v42
	;; [unrolled: 1-line block ×5, first 2 shown]
	v_fma_f32 v17, v59, v50, -v0
	v_fmac_f32_e32 v18, v61, v73
	v_fma_f32 v19, v62, v73, -v4
	v_fmac_f32_e32 v20, v71, v75
	v_fma_f32 v21, v72, v75, -v21
	v_fma_f32 v4, v15, v30, -v31
	ds_write2_b64 v82, v[9:10], v[1:2] offset0:21 offset1:24
	ds_write2_b64 v82, v[13:14], v[7:8] offset0:27 offset1:30
	;; [unrolled: 1-line block ×5, first 2 shown]
.LBB0_3:
	s_or_b32 exec_lo, exec_lo, s1
	s_clause 0x1
	s_load_dwordx2 s[0:1], s[4:5], 0x20
	s_load_dwordx2 s[4:5], s[4:5], 0x8
	v_mov_b32_e32 v8, 0
	v_mov_b32_e32 v9, 0
	s_waitcnt lgkmcnt(0)
	s_barrier
	buffer_gl0_inv
                                        ; implicit-def: $vgpr25
                                        ; implicit-def: $vgpr29
                                        ; implicit-def: $vgpr33
                                        ; implicit-def: $vgpr5
                                        ; implicit-def: $vgpr23
                                        ; implicit-def: $vgpr39
                                        ; implicit-def: $vgpr43
                                        ; implicit-def: $vgpr46
	s_and_saveexec_b32 s2, vcc_lo
	s_cbranch_execz .LBB0_5
; %bb.4:
	v_lshl_add_u32 v0, v68, 3, v64
	ds_read2_b64 v[8:11], v0 offset1:3
	ds_read2_b64 v[44:47], v0 offset0:6 offset1:9
	ds_read2_b64 v[24:27], v0 offset0:12 offset1:15
	;; [unrolled: 1-line block ×7, first 2 shown]
	ds_read_b64 v[4:5], v0 offset:384
.LBB0_5:
	s_or_b32 exec_lo, exec_lo, s2
	s_waitcnt lgkmcnt(0)
	v_sub_f32_e32 v53, v11, v5
	v_add_f32_e32 v76, v4, v10
	v_sub_f32_e32 v52, v10, v4
	v_sub_f32_e32 v57, v45, v23
	v_add_f32_e32 v77, v5, v11
	v_mul_f32_e32 v73, 0xbeb8f4ab, v53
	v_add_f32_e32 v79, v22, v44
	v_sub_f32_e32 v56, v44, v22
	v_mul_f32_e32 v75, 0xbeb8f4ab, v52
	v_mul_f32_e32 v72, 0xbf2c7751, v57
	v_fmamk_f32 v0, v76, 0x3f6eb680, v73
	v_sub_f32_e32 v59, v47, v21
	v_add_f32_e32 v80, v23, v45
	v_mul_f32_e32 v74, 0xbf2c7751, v56
	v_fma_f32 v1, 0x3f6eb680, v77, -v75
	v_fmamk_f32 v2, v79, 0x3f3d2fb0, v72
	v_add_f32_e32 v0, v0, v8
	v_sub_f32_e32 v58, v46, v20
	v_add_f32_e32 v83, v20, v46
	v_mul_f32_e32 v78, 0xbf65296c, v59
	v_add_f32_e32 v71, v24, v38
	v_fma_f32 v3, 0x3f3d2fb0, v80, -v74
	v_add_f32_e32 v1, v1, v9
	v_add_f32_e32 v0, v2, v0
	;; [unrolled: 1-line block ×3, first 2 shown]
	v_mul_f32_e32 v82, 0xbf65296c, v58
	v_fmamk_f32 v2, v83, 0x3ee437d1, v78
	v_sub_f32_e32 v88, v25, v39
	v_mul_f32_e32 v81, 0x3dbcf732, v71
	v_sub_f32_e32 v96, v24, v38
	v_add_f32_e32 v101, v26, v36
	v_add_f32_e32 v1, v3, v1
	v_fma_f32 v3, 0x3ee437d1, v84, -v82
	v_add_f32_e32 v0, v2, v0
	v_fmamk_f32 v2, v88, 0xbf7ee86f, v81
	v_add_f32_e32 v93, v25, v39
	v_mul_f32_e32 v86, 0xbf7ee86f, v96
	v_sub_f32_e32 v91, v27, v37
	v_mul_f32_e32 v85, 0xbe8c1d8e, v101
	v_sub_f32_e32 v102, v26, v36
	v_add_f32_e32 v1, v3, v1
	v_fma_f32 v3, 0x3dbcf732, v93, -v86
	v_add_f32_e32 v0, v2, v0
	v_fmamk_f32 v2, v91, 0xbf763a35, v85
	v_add_f32_e32 v92, v27, v37
	v_mul_f32_e32 v87, 0xbf763a35, v102
	v_sub_f32_e32 v107, v28, v42
	v_add_f32_e32 v1, v3, v1
	v_add_f32_e32 v0, v2, v0
	;; [unrolled: 1-line block ×3, first 2 shown]
	v_fma_f32 v2, 0xbe8c1d8e, v92, -v87
	v_mul_f32_e32 v90, 0xbf4c4adb, v107
	v_sub_f32_e32 v115, v30, v40
	v_add_f32_e32 v103, v31, v41
	v_mul_f32_e32 v114, 0xbf2c7751, v53
	v_add_f32_e32 v1, v2, v1
	v_fma_f32 v3, 0xbf1a4643, v97, -v90
	v_mul_f32_e32 v95, 0xbf06c442, v115
	v_mul_f32_e32 v123, 0xbf2c7751, v52
	v_mul_f32_e32 v117, 0xbf7ee86f, v57
	v_mul_f32_e32 v125, 0xbf7ee86f, v56
	v_add_f32_e32 v1, v3, v1
	v_fma_f32 v3, 0xbf59a7d5, v103, -v95
	v_fma_f32 v7, 0x3f3d2fb0, v77, -v123
	v_fmamk_f32 v12, v79, 0x3dbcf732, v117
	v_mul_f32_e32 v118, 0xbf4c4adb, v59
	v_add_f32_e32 v106, v28, v42
	v_add_f32_e32 v1, v3, v1
	v_fmamk_f32 v3, v76, 0x3f3d2fb0, v114
	v_add_f32_e32 v7, v7, v9
	v_fma_f32 v13, 0x3dbcf732, v80, -v125
	v_mul_f32_e32 v121, 0xbf4c4adb, v58
	v_mul_f32_e32 v119, 0xbf7ba420, v71
	v_add_f32_e32 v3, v3, v8
	v_sub_f32_e32 v98, v29, v43
	v_mul_f32_e32 v89, 0xbf1a4643, v106
	v_add_f32_e32 v113, v30, v40
	v_sub_f32_e32 v128, v32, v34
	v_add_f32_e32 v3, v12, v3
	v_fmamk_f32 v12, v83, 0xbf1a4643, v118
	v_add_f32_e32 v7, v13, v7
	v_fma_f32 v13, 0xbf1a4643, v84, -v121
	v_mul_f32_e32 v122, 0xbe3c28d5, v96
	v_mul_f32_e32 v120, 0xbf59a7d5, v101
	v_add_f32_e32 v3, v12, v3
	v_fmamk_f32 v12, v88, 0xbe3c28d5, v119
	v_fmamk_f32 v2, v98, 0xbf4c4adb, v89
	v_sub_f32_e32 v104, v31, v41
	v_mul_f32_e32 v94, 0xbf59a7d5, v113
	v_add_f32_e32 v127, v32, v34
	v_add_f32_e32 v111, v33, v35
	v_mul_f32_e32 v100, 0xbe3c28d5, v128
	v_add_f32_e32 v7, v13, v7
	v_fma_f32 v13, 0xbf7ba420, v93, -v122
	v_mul_f32_e32 v124, 0x3f06c442, v102
	v_add_f32_e32 v3, v12, v3
	v_fmamk_f32 v12, v91, 0x3f06c442, v120
	v_mul_f32_e32 v108, 0xbe8c1d8e, v106
	v_add_f32_e32 v0, v2, v0
	v_fmamk_f32 v2, v104, 0xbf06c442, v94
	v_sub_f32_e32 v105, v33, v35
	v_mul_f32_e32 v99, 0xbf7ba420, v127
	v_fma_f32 v6, 0xbf7ba420, v111, -v100
	v_add_f32_e32 v7, v13, v7
	v_fma_f32 v13, 0xbf59a7d5, v92, -v124
	v_mul_f32_e32 v126, 0x3f763a35, v107
	v_add_f32_e32 v3, v12, v3
	v_fmamk_f32 v12, v98, 0x3f763a35, v108
	v_mul_f32_e32 v109, 0x3ee437d1, v113
	v_add_f32_e32 v0, v2, v0
	v_fmamk_f32 v2, v105, 0xbe3c28d5, v99
	v_add_f32_e32 v7, v13, v7
	v_fma_f32 v13, 0xbe8c1d8e, v97, -v126
	v_mul_f32_e32 v112, 0x3f65296c, v115
	v_add_f32_e32 v3, v12, v3
	v_fmamk_f32 v12, v104, 0x3f65296c, v109
	v_add_f32_e32 v62, v6, v1
	v_mul_f32_e32 v6, 0xbf65296c, v53
	v_add_f32_e32 v61, v2, v0
	v_add_f32_e32 v0, v13, v7
	v_fma_f32 v2, 0x3ee437d1, v103, -v112
	v_add_f32_e32 v1, v12, v3
	v_mul_f32_e32 v110, 0x3f6eb680, v127
	v_mul_f32_e32 v7, 0xbf65296c, v52
	v_fma_f32 v3, 0x3ee437d1, v76, -v6
	v_mul_f32_e32 v12, 0xbf4c4adb, v57
	v_add_f32_e32 v0, v2, v0
	v_mul_f32_e32 v116, 0x3eb8f4ab, v128
	v_fmamk_f32 v2, v105, 0x3eb8f4ab, v110
	v_fmamk_f32 v13, v77, 0x3ee437d1, v7
	v_mul_f32_e32 v14, 0xbf4c4adb, v56
	v_add_f32_e32 v3, v3, v8
	v_fma_f32 v16, 0xbf1a4643, v79, -v12
	v_mul_f32_e32 v18, 0x3e3c28d5, v59
	v_fma_f32 v15, 0x3f6eb680, v111, -v116
	v_add_f32_e32 v13, v13, v9
	v_fmamk_f32 v17, v80, 0xbf1a4643, v14
	v_mul_f32_e32 v19, 0x3e3c28d5, v58
	v_add_f32_e32 v2, v2, v1
	v_add_f32_e32 v1, v16, v3
	v_fma_f32 v16, 0xbf7ba420, v83, -v18
	v_mul_f32_e32 v48, 0xbe8c1d8e, v71
	v_add_f32_e32 v13, v17, v13
	v_fmamk_f32 v17, v84, 0xbf7ba420, v19
	v_add_f32_e32 v3, v15, v0
	v_mul_f32_e32 v0, 0x3f763a35, v96
	v_add_f32_e32 v1, v16, v1
	v_fmamk_f32 v15, v88, 0xbf763a35, v48
	v_mul_f32_e32 v16, 0x3f3d2fb0, v101
	v_fmac_f32_e32 v6, 0x3ee437d1, v76
	v_add_f32_e32 v13, v17, v13
	v_fmamk_f32 v17, v93, 0xbe8c1d8e, v0
	v_mul_f32_e32 v49, 0x3f2c7751, v102
	v_add_f32_e32 v1, v15, v1
	v_fmamk_f32 v15, v91, 0xbf2c7751, v16
	v_add_f32_e32 v6, v6, v8
	v_fmac_f32_e32 v12, 0xbf1a4643, v79
	v_add_f32_e32 v13, v17, v13
	v_fmamk_f32 v17, v92, 0x3f3d2fb0, v49
	v_add_f32_e32 v1, v15, v1
	v_mul_f32_e32 v15, 0x3f6eb680, v106
	v_mul_f32_e32 v50, 0xbeb8f4ab, v107
	v_add_f32_e32 v6, v12, v6
	v_fmac_f32_e32 v18, 0xbf7ba420, v83
	v_add_f32_e32 v13, v17, v13
	v_fmamk_f32 v12, v98, 0x3eb8f4ab, v15
	v_fmamk_f32 v17, v97, 0x3f6eb680, v50
	v_mul_f32_e32 v51, 0x3dbcf732, v113
	v_mul_f32_e32 v54, 0xbf7ee86f, v115
	v_add_f32_e32 v6, v18, v6
	v_fmac_f32_e32 v48, 0x3f763a35, v88
	v_add_f32_e32 v1, v12, v1
	v_fmamk_f32 v12, v104, 0x3f7ee86f, v51
	v_add_f32_e32 v13, v17, v13
	v_fmamk_f32 v17, v103, 0x3dbcf732, v54
	v_add_f32_e32 v6, v48, v6
	v_fmac_f32_e32 v16, 0x3f2c7751, v91
	v_add_f32_e32 v1, v12, v1
	v_fma_f32 v7, 0x3ee437d1, v77, -v7
	v_add_f32_e32 v12, v17, v13
	v_mul_f32_e32 v13, 0xbf59a7d5, v127
	v_add_f32_e32 v6, v16, v6
	v_fmac_f32_e32 v15, 0xbeb8f4ab, v98
	v_add_f32_e32 v7, v7, v9
	v_fma_f32 v14, 0xbf1a4643, v80, -v14
	v_mul_f32_e32 v16, 0xbf06c442, v128
	v_fmamk_f32 v17, v105, 0x3f06c442, v13
	v_add_f32_e32 v15, v15, v6
	v_fmac_f32_e32 v51, 0xbf7ee86f, v104
	v_add_f32_e32 v7, v14, v7
	v_fma_f32 v14, 0xbf7ba420, v84, -v19
	v_fmamk_f32 v18, v111, 0xbf59a7d5, v16
	v_add_f32_e32 v6, v17, v1
	v_add_f32_e32 v1, v51, v15
	v_fmac_f32_e32 v13, 0xbf06c442, v105
	v_add_f32_e32 v14, v14, v7
	v_fma_f32 v15, 0xbe8c1d8e, v93, -v0
	v_add_f32_e32 v7, v18, v12
	v_mul_f32_e32 v12, 0xbf7ee86f, v53
	v_add_f32_e32 v0, v13, v1
	v_mul_f32_e32 v13, 0xbf7ee86f, v52
	v_add_f32_e32 v1, v15, v14
	v_fma_f32 v14, 0x3f3d2fb0, v92, -v49
	v_fma_f32 v15, 0x3dbcf732, v76, -v12
	v_mul_f32_e32 v17, 0xbe3c28d5, v57
	v_fmamk_f32 v18, v77, 0x3dbcf732, v13
	v_mul_f32_e32 v19, 0xbe3c28d5, v56
	v_add_f32_e32 v1, v14, v1
	v_add_f32_e32 v14, v15, v8
	v_fma_f32 v15, 0xbf7ba420, v79, -v17
	v_add_f32_e32 v18, v18, v9
	v_fmamk_f32 v48, v80, 0xbf7ba420, v19
	v_mul_f32_e32 v49, 0x3f763a35, v59
	v_mul_f32_e32 v51, 0x3f763a35, v58
	v_fma_f32 v50, 0x3f6eb680, v97, -v50
	v_add_f32_e32 v14, v15, v14
	v_add_f32_e32 v15, v48, v18
	v_fma_f32 v18, 0xbe8c1d8e, v83, -v49
	v_fmamk_f32 v48, v84, 0xbe8c1d8e, v51
	v_mul_f32_e32 v55, 0x3f6eb680, v71
	v_mul_f32_e32 v129, 0x3eb8f4ab, v96
	v_add_f32_e32 v1, v50, v1
	v_add_f32_e32 v14, v18, v14
	v_add_f32_e32 v15, v48, v15
	v_fmamk_f32 v18, v88, 0xbeb8f4ab, v55
	v_fmamk_f32 v48, v93, 0x3f6eb680, v129
	v_mul_f32_e32 v50, 0x3ee437d1, v101
	v_mul_f32_e32 v130, 0xbf65296c, v102
	v_fma_f32 v54, 0x3dbcf732, v103, -v54
	v_add_f32_e32 v14, v18, v14
	v_add_f32_e32 v15, v48, v15
	v_fmamk_f32 v18, v91, 0x3f65296c, v50
	v_fmamk_f32 v48, v92, 0x3ee437d1, v130
	v_mul_f32_e32 v131, 0xbf59a7d5, v106
	v_add_f32_e32 v1, v54, v1
	v_mul_f32_e32 v54, 0xbf06c442, v107
	v_add_f32_e32 v14, v18, v14
	v_add_f32_e32 v15, v48, v15
	v_fmamk_f32 v18, v98, 0x3f06c442, v131
	v_mul_f32_e32 v48, 0xbf1a4643, v113
	v_fmamk_f32 v132, v97, 0xbf59a7d5, v54
	v_mul_f32_e32 v133, 0x3f4c4adb, v115
	v_fma_f32 v16, 0xbf59a7d5, v111, -v16
	v_add_f32_e32 v14, v18, v14
	v_fmamk_f32 v18, v104, 0xbf4c4adb, v48
	v_fmac_f32_e32 v12, 0x3dbcf732, v76
	v_fma_f32 v13, 0x3dbcf732, v77, -v13
	v_add_f32_e32 v15, v132, v15
	v_fmamk_f32 v132, v103, 0xbf1a4643, v133
	v_add_f32_e32 v1, v16, v1
	v_add_f32_e32 v14, v18, v14
	v_mul_f32_e32 v16, 0x3f3d2fb0, v127
	v_add_f32_e32 v12, v12, v8
	v_fmac_f32_e32 v17, 0xbf7ba420, v79
	v_add_f32_e32 v13, v13, v9
	v_fma_f32 v18, 0xbf7ba420, v80, -v19
	v_mul_f32_e32 v19, 0x3f2c7751, v128
	v_add_f32_e32 v15, v132, v15
	v_fmamk_f32 v132, v105, 0xbf2c7751, v16
	v_add_f32_e32 v17, v17, v12
	v_fmac_f32_e32 v49, 0xbe8c1d8e, v83
	v_add_f32_e32 v13, v18, v13
	v_fma_f32 v18, 0xbe8c1d8e, v84, -v51
	v_fmamk_f32 v51, v111, 0x3f3d2fb0, v19
	v_add_f32_e32 v12, v132, v14
	v_add_f32_e32 v14, v49, v17
	v_fmac_f32_e32 v55, 0x3eb8f4ab, v88
	v_add_f32_e32 v17, v18, v13
	v_fma_f32 v18, 0x3f6eb680, v93, -v129
	v_add_f32_e32 v13, v51, v15
	v_mul_f32_e32 v15, 0xbf763a35, v53
	v_add_f32_e32 v14, v55, v14
	v_fmac_f32_e32 v50, 0xbf65296c, v91
	v_add_f32_e32 v17, v18, v17
	v_fma_f32 v18, 0x3ee437d1, v92, -v130
	v_fma_f32 v49, 0xbe8c1d8e, v76, -v15
	v_mul_f32_e32 v51, 0x3f06c442, v57
	v_add_f32_e32 v14, v50, v14
	v_fmac_f32_e32 v131, 0xbf06c442, v98
	v_add_f32_e32 v17, v18, v17
	v_add_f32_e32 v18, v49, v8
	v_fma_f32 v49, 0xbf59a7d5, v79, -v51
	v_mul_f32_e32 v50, 0x3f2c7751, v59
	v_fma_f32 v54, 0xbf59a7d5, v97, -v54
	v_add_f32_e32 v14, v131, v14
	v_fmac_f32_e32 v48, 0x3f4c4adb, v104
	v_add_f32_e32 v18, v49, v18
	v_fma_f32 v49, 0x3f3d2fb0, v83, -v50
	v_mul_f32_e32 v55, 0x3ee437d1, v71
	v_add_f32_e32 v17, v54, v17
	v_fma_f32 v54, 0xbf1a4643, v103, -v133
	v_add_f32_e32 v14, v48, v14
	v_add_f32_e32 v18, v49, v18
	v_fmamk_f32 v48, v88, 0x3f65296c, v55
	v_mul_f32_e32 v49, 0xbf7ba420, v101
	v_add_f32_e32 v17, v54, v17
	v_mul_f32_e32 v54, 0xbf763a35, v52
	v_fmac_f32_e32 v16, 0x3f2c7751, v105
	v_add_f32_e32 v18, v48, v18
	v_fmamk_f32 v48, v91, 0x3e3c28d5, v49
	v_mul_f32_e32 v129, 0x3dbcf732, v106
	v_fmamk_f32 v130, v77, 0xbe8c1d8e, v54
	v_mul_f32_e32 v131, 0x3f06c442, v56
	v_mul_f32_e32 v134, 0x3f2c7751, v58
	v_add_f32_e32 v48, v48, v18
	v_fmamk_f32 v132, v98, 0xbf7ee86f, v129
	v_add_f32_e32 v130, v130, v9
	v_fmamk_f32 v133, v80, 0xbf59a7d5, v131
	v_add_f32_e32 v18, v16, v14
	v_mul_f32_e32 v16, 0x3f6eb680, v113
	v_add_f32_e32 v14, v132, v48
	v_mul_f32_e32 v132, 0xbf65296c, v96
	v_add_f32_e32 v48, v133, v130
	v_fmamk_f32 v130, v84, 0x3f3d2fb0, v134
	v_fmamk_f32 v133, v104, 0x3eb8f4ab, v16
	v_fmac_f32_e32 v15, 0xbe8c1d8e, v76
	v_fma_f32 v54, 0xbe8c1d8e, v77, -v54
	v_fmac_f32_e32 v51, 0xbf59a7d5, v79
	v_add_f32_e32 v48, v130, v48
	v_fmamk_f32 v130, v93, 0x3ee437d1, v132
	v_add_f32_e32 v14, v133, v14
	v_mul_f32_e32 v133, 0xbe3c28d5, v102
	v_add_f32_e32 v15, v15, v8
	v_mul_f32_e32 v136, 0x3f7ee86f, v107
	v_add_f32_e32 v48, v130, v48
	v_add_f32_e32 v54, v54, v9
	v_fmamk_f32 v130, v92, 0xbf7ba420, v133
	v_fma_f32 v131, 0xbf59a7d5, v80, -v131
	v_add_f32_e32 v15, v51, v15
	v_fmac_f32_e32 v50, 0x3f3d2fb0, v83
	v_fmamk_f32 v51, v97, 0x3dbcf732, v136
	v_add_f32_e32 v48, v130, v48
	v_add_f32_e32 v54, v131, v54
	v_fma_f32 v130, 0x3f3d2fb0, v84, -v134
	v_mul_f32_e32 v131, 0xbeb8f4ab, v115
	v_add_f32_e32 v15, v50, v15
	v_fmac_f32_e32 v55, 0xbf65296c, v88
	v_add_f32_e32 v48, v51, v48
	v_add_f32_e32 v50, v130, v54
	v_fma_f32 v51, 0x3ee437d1, v93, -v132
	v_fmamk_f32 v54, v103, 0x3f6eb680, v131
	v_add_f32_e32 v15, v55, v15
	v_fmac_f32_e32 v49, 0xbe3c28d5, v91
	v_mul_f32_e32 v55, 0xbf4c4adb, v128
	v_add_f32_e32 v50, v51, v50
	v_fma_f32 v51, 0xbf7ba420, v92, -v133
	v_add_f32_e32 v48, v54, v48
	v_add_f32_e32 v15, v49, v15
	v_fmac_f32_e32 v129, 0x3f7ee86f, v98
	v_fmamk_f32 v49, v111, 0xbf1a4643, v55
	v_add_f32_e32 v50, v51, v50
	v_fma_f32 v51, 0x3dbcf732, v97, -v136
	v_fma_f32 v19, 0x3f3d2fb0, v111, -v19
	v_add_f32_e32 v54, v129, v15
	v_fmac_f32_e32 v16, 0xbeb8f4ab, v104
	v_add_f32_e32 v15, v49, v48
	v_add_f32_e32 v48, v51, v50
	v_fma_f32 v49, 0x3f6eb680, v103, -v131
	v_mul_f32_e32 v50, 0xbf4c4adb, v53
	v_mul_f32_e32 v51, 0xbf4c4adb, v52
	v_add_f32_e32 v19, v19, v17
	v_mul_f32_e32 v17, 0xbf1a4643, v127
	v_add_f32_e32 v16, v16, v54
	v_add_f32_e32 v48, v49, v48
	v_fma_f32 v49, 0xbf1a4643, v76, -v50
	v_mul_f32_e32 v54, 0x3f763a35, v57
	v_fmamk_f32 v129, v77, 0xbf1a4643, v51
	v_mul_f32_e32 v130, 0x3f763a35, v56
	v_fmamk_f32 v135, v105, 0x3f4c4adb, v17
	v_add_f32_e32 v49, v49, v8
	v_fma_f32 v131, 0xbe8c1d8e, v79, -v54
	v_mul_f32_e32 v132, 0xbeb8f4ab, v59
	v_add_f32_e32 v129, v129, v9
	v_fmamk_f32 v133, v80, 0xbe8c1d8e, v130
	v_mul_f32_e32 v134, 0xbeb8f4ab, v58
	v_add_f32_e32 v14, v135, v14
	v_add_f32_e32 v49, v131, v49
	v_fma_f32 v131, 0x3f6eb680, v83, -v132
	v_mul_f32_e32 v135, 0xbf59a7d5, v71
	v_add_f32_e32 v129, v133, v129
	v_fmamk_f32 v133, v84, 0x3f6eb680, v134
	v_mul_f32_e32 v136, 0xbf06c442, v96
	v_add_f32_e32 v49, v131, v49
	v_fmamk_f32 v131, v88, 0x3f06c442, v135
	;; [unrolled: 3-line block ×3, first 2 shown]
	v_mul_f32_e32 v138, 0x3f7ee86f, v102
	v_fmac_f32_e32 v17, 0xbf4c4adb, v105
	v_fma_f32 v55, 0xbf1a4643, v111, -v55
	v_add_f32_e32 v49, v131, v49
	v_fmamk_f32 v131, v91, 0xbf7ee86f, v137
	v_mul_f32_e32 v139, 0x3f3d2fb0, v106
	v_add_f32_e32 v129, v133, v129
	v_fmamk_f32 v133, v92, 0x3dbcf732, v138
	v_mul_f32_e32 v140, 0xbf2c7751, v107
	v_fmac_f32_e32 v50, 0xbf1a4643, v76
	v_fma_f32 v51, 0xbf1a4643, v77, -v51
	v_add_f32_e32 v49, v131, v49
	v_fmamk_f32 v131, v98, 0x3f2c7751, v139
	v_add_f32_e32 v16, v17, v16
	v_add_f32_e32 v129, v133, v129
	v_fmamk_f32 v133, v97, 0x3f3d2fb0, v140
	v_add_f32_e32 v17, v55, v48
	v_mul_f32_e32 v55, 0xbf7ba420, v113
	v_add_f32_e32 v50, v50, v8
	v_fmac_f32_e32 v54, 0xbe8c1d8e, v79
	v_add_f32_e32 v51, v51, v9
	v_fma_f32 v130, 0xbe8c1d8e, v80, -v130
	v_add_f32_e32 v48, v131, v49
	v_add_f32_e32 v49, v133, v129
	v_mul_f32_e32 v129, 0xbe3c28d5, v115
	v_fmamk_f32 v131, v104, 0x3e3c28d5, v55
	v_add_f32_e32 v50, v54, v50
	v_fmac_f32_e32 v132, 0x3f6eb680, v83
	v_add_f32_e32 v51, v130, v51
	v_fma_f32 v54, 0x3f6eb680, v84, -v134
	v_mul_f32_e32 v130, 0x3ee437d1, v127
	v_fmamk_f32 v133, v103, 0xbf7ba420, v129
	v_add_f32_e32 v48, v131, v48
	v_add_f32_e32 v50, v132, v50
	v_fmac_f32_e32 v135, 0xbf06c442, v88
	v_mul_f32_e32 v131, 0x3f65296c, v128
	v_add_f32_e32 v51, v54, v51
	v_fma_f32 v54, 0xbf59a7d5, v93, -v136
	v_fmamk_f32 v132, v105, 0xbf65296c, v130
	v_add_f32_e32 v49, v133, v49
	v_add_f32_e32 v50, v135, v50
	v_fmac_f32_e32 v137, 0x3f7ee86f, v91
	v_fmamk_f32 v133, v111, 0x3ee437d1, v131
	v_add_f32_e32 v51, v54, v51
	v_fma_f32 v54, 0x3dbcf732, v92, -v138
	v_add_f32_e32 v48, v132, v48
	v_mul_f32_e32 v132, 0xbf06c442, v53
	v_add_f32_e32 v50, v137, v50
	v_fmac_f32_e32 v139, 0xbf2c7751, v98
	v_add_f32_e32 v51, v54, v51
	v_fma_f32 v54, 0x3f3d2fb0, v97, -v140
	v_add_f32_e32 v49, v133, v49
	v_fma_f32 v133, 0xbf59a7d5, v76, -v132
	v_mul_f32_e32 v134, 0x3f65296c, v57
	v_add_f32_e32 v50, v139, v50
	v_add_f32_e32 v51, v54, v51
	v_fmac_f32_e32 v55, 0xbe3c28d5, v104
	v_fma_f32 v54, 0xbf7ba420, v103, -v129
	v_add_f32_e32 v129, v133, v8
	v_fma_f32 v133, 0x3ee437d1, v79, -v134
	v_mul_f32_e32 v135, 0xbf7ee86f, v59
	v_add_f32_e32 v50, v55, v50
	v_fmac_f32_e32 v130, 0x3f65296c, v105
	v_add_f32_e32 v51, v54, v51
	v_add_f32_e32 v55, v133, v129
	v_fma_f32 v129, 0x3dbcf732, v83, -v135
	v_mul_f32_e32 v133, 0xbf1a4643, v71
	v_fma_f32 v131, 0x3ee437d1, v111, -v131
	v_add_f32_e32 v54, v130, v50
	v_mul_f32_e32 v130, 0xbf06c442, v52
	v_add_f32_e32 v50, v129, v55
	v_fmamk_f32 v129, v88, 0xbf4c4adb, v133
	v_mul_f32_e32 v136, 0x3f6eb680, v101
	v_add_f32_e32 v55, v131, v51
	v_fmamk_f32 v51, v77, 0xbf59a7d5, v130
	;; [unrolled: 3-line block ×5, first 2 shown]
	v_mul_f32_e32 v140, 0x3f3d2fb0, v113
	v_fmac_f32_e32 v132, 0xbf59a7d5, v76
	v_add_f32_e32 v51, v138, v51
	v_fmamk_f32 v138, v84, 0x3dbcf732, v139
	v_mul_f32_e32 v141, 0x3f4c4adb, v96
	v_add_f32_e32 v50, v129, v50
	v_fmamk_f32 v129, v104, 0xbf2c7751, v140
	v_add_f32_e32 v132, v132, v8
	v_fmac_f32_e32 v134, 0x3ee437d1, v79
	v_mul_f32_e32 v143, 0xbe8c1d8e, v127
	v_add_f32_e32 v51, v138, v51
	v_fmamk_f32 v138, v93, 0xbf1a4643, v141
	v_mul_f32_e32 v142, 0xbeb8f4ab, v102
	v_add_f32_e32 v132, v134, v132
	v_fmac_f32_e32 v135, 0x3dbcf732, v83
	v_add_f32_e32 v50, v129, v50
	v_fmamk_f32 v129, v105, 0x3f763a35, v143
	v_add_f32_e32 v51, v138, v51
	v_fmamk_f32 v138, v92, 0x3f6eb680, v142
	v_mul_f32_e32 v144, 0xbe3c28d5, v107
	v_add_f32_e32 v132, v135, v132
	v_fmac_f32_e32 v133, 0x3f4c4adb, v88
	v_add_f32_e32 v50, v129, v50
	v_fma_f32 v129, 0xbf59a7d5, v77, -v130
	v_add_f32_e32 v51, v138, v51
	v_fmamk_f32 v134, v97, 0xbf7ba420, v144
	v_mul_f32_e32 v130, 0x3f2c7751, v115
	v_add_f32_e32 v132, v133, v132
	v_fmac_f32_e32 v136, 0xbeb8f4ab, v91
	v_add_f32_e32 v129, v129, v9
	v_fma_f32 v131, 0x3ee437d1, v80, -v131
	;; [unrolled: 7-line block ×3, first 2 shown]
	v_add_f32_e32 v51, v133, v51
	v_fmamk_f32 v133, v111, 0xbe8c1d8e, v134
	v_add_f32_e32 v132, v137, v132
	v_fmac_f32_e32 v140, 0x3f2c7751, v104
	v_add_f32_e32 v129, v131, v129
	v_fma_f32 v131, 0xbf1a4643, v93, -v141
	v_mul_f32_e32 v53, 0xbe3c28d5, v53
	v_add_f32_e32 v51, v133, v51
	v_add_f32_e32 v132, v140, v132
	v_fmac_f32_e32 v143, 0xbf763a35, v105
	v_add_f32_e32 v129, v131, v129
	v_fma_f32 v131, 0x3f6eb680, v92, -v142
	v_fma_f32 v133, 0xbf7ba420, v76, -v53
	v_mul_f32_e32 v57, 0x3eb8f4ab, v57
	v_mul_f32_e32 v135, 0xbe3c28d5, v52
	v_add_f32_e32 v52, v143, v132
	v_add_f32_e32 v129, v131, v129
	;; [unrolled: 1-line block ×3, first 2 shown]
	v_fma_f32 v132, 0x3f6eb680, v79, -v57
	v_fmamk_f32 v133, v77, 0xbf7ba420, v135
	v_mul_f32_e32 v56, 0x3eb8f4ab, v56
	v_mul_f32_e32 v58, 0xbf06c442, v58
	;; [unrolled: 1-line block ×3, first 2 shown]
	v_add_f32_e32 v131, v132, v131
	v_add_f32_e32 v132, v133, v9
	v_fmamk_f32 v133, v80, 0x3f6eb680, v56
	v_mul_f32_e32 v102, 0xbf4c4adb, v102
	v_fmac_f32_e32 v53, 0xbf7ba420, v76
	v_mul_f32_e32 v59, 0xbf06c442, v59
	v_fmac_f32_e32 v57, 0x3f6eb680, v79
	v_add_f32_e32 v132, v133, v132
	v_fmamk_f32 v133, v84, 0xbf59a7d5, v58
	v_add_f32_e32 v53, v53, v8
	v_fma_f32 v56, 0x3f6eb680, v80, -v56
	v_fma_f32 v136, 0xbf7ba420, v97, -v144
	;; [unrolled: 1-line block ×3, first 2 shown]
	v_add_f32_e32 v132, v133, v132
	v_fmamk_f32 v133, v93, 0x3f3d2fb0, v96
	v_mul_f32_e32 v71, 0x3f3d2fb0, v71
	v_add_f32_e32 v53, v57, v53
	v_fmac_f32_e32 v59, 0xbf59a7d5, v83
	v_fma_f32 v57, 0xbf59a7d5, v84, -v58
	v_add_f32_e32 v132, v133, v132
	v_fmamk_f32 v133, v92, 0xbf1a4643, v102
	v_add_f32_e32 v129, v136, v129
	v_add_f32_e32 v131, v137, v131
	v_fmamk_f32 v136, v88, 0xbf2c7751, v71
	v_mul_f32_e32 v101, 0xbf1a4643, v101
	v_add_f32_e32 v132, v133, v132
	v_fma_f32 v133, 0xbf7ba420, v77, -v135
	v_mul_f32_e32 v107, 0x3f65296c, v107
	v_add_f32_e32 v53, v59, v53
	v_fmac_f32_e32 v71, 0x3f2c7751, v88
	v_fma_f32 v130, 0x3f3d2fb0, v103, -v130
	v_add_f32_e32 v133, v133, v9
	v_add_f32_e32 v131, v136, v131
	v_fmamk_f32 v136, v91, 0x3f4c4adb, v101
	v_mul_f32_e32 v106, 0x3ee437d1, v106
	v_fmamk_f32 v135, v97, 0x3ee437d1, v107
	v_add_f32_e32 v56, v56, v133
	v_mul_f32_e32 v58, 0xbe8c1d8e, v113
	v_mul_f32_e32 v113, 0xbf763a35, v115
	v_add_f32_e32 v53, v71, v53
	v_fmac_f32_e32 v101, 0xbf4c4adb, v91
	v_add_f32_e32 v56, v57, v56
	v_fma_f32 v57, 0x3f3d2fb0, v93, -v96
	v_add_f32_e32 v129, v130, v129
	v_fma_f32 v130, 0xbe8c1d8e, v111, -v134
	v_add_f32_e32 v131, v136, v131
	v_fmamk_f32 v134, v98, 0xbf65296c, v106
	v_add_f32_e32 v56, v57, v56
	v_fma_f32 v57, 0xbf1a4643, v92, -v102
	v_add_f32_e32 v132, v135, v132
	v_fmamk_f32 v96, v103, 0xbe8c1d8e, v113
	v_add_f32_e32 v53, v101, v53
	v_fmac_f32_e32 v106, 0x3f65296c, v98
	v_add_f32_e32 v56, v57, v56
	v_fma_f32 v57, 0x3ee437d1, v97, -v107
	v_add_f32_e32 v131, v134, v131
	v_fmamk_f32 v59, v104, 0x3f763a35, v58
	v_add_f32_e32 v71, v96, v132
	v_mul_f32_e32 v96, 0x3dbcf732, v127
	v_mul_f32_e32 v101, 0x3f7ee86f, v128
	v_add_f32_e32 v53, v106, v53
	v_fmac_f32_e32 v58, 0xbf763a35, v104
	v_add_f32_e32 v56, v57, v56
	v_fma_f32 v57, 0xbe8c1d8e, v103, -v113
	v_add_f32_e32 v59, v59, v131
	v_fmamk_f32 v102, v105, 0xbf7ee86f, v96
	v_fmamk_f32 v106, v111, 0x3dbcf732, v101
	v_add_f32_e32 v58, v58, v53
	v_fmac_f32_e32 v96, 0x3f7ee86f, v105
	v_add_f32_e32 v107, v57, v56
	v_fma_f32 v101, 0x3dbcf732, v111, -v101
	v_add_f32_e32 v53, v130, v129
	v_add_f32_e32 v56, v102, v59
	;; [unrolled: 1-line block ×5, first 2 shown]
	v_mul_lo_u16 v71, v69, 17
	s_barrier
	buffer_gl0_inv
	s_and_saveexec_b32 s2, vcc_lo
	s_cbranch_execz .LBB0_7
; %bb.6:
	v_mul_f32_e32 v96, 0x3f6eb680, v76
	v_mul_f32_e32 v76, 0x3f3d2fb0, v76
	;; [unrolled: 1-line block ×4, first 2 shown]
	v_add_f32_e32 v11, v11, v9
	v_add_f32_e32 v10, v10, v8
	v_sub_f32_e32 v76, v76, v114
	v_mul_f32_e32 v107, 0x3ee437d1, v83
	v_mul_f32_e32 v83, 0xbf1a4643, v83
	v_sub_f32_e32 v79, v79, v117
	v_add_f32_e32 v11, v45, v11
	v_add_f32_e32 v76, v76, v8
	;; [unrolled: 1-line block ×3, first 2 shown]
	v_mul_f32_e32 v115, 0xbf7ee86f, v88
	v_mul_f32_e32 v88, 0xbe3c28d5, v88
	v_add_f32_e32 v11, v47, v11
	v_add_f32_e32 v76, v79, v76
	v_sub_f32_e32 v79, v83, v118
	v_add_f32_e32 v10, v46, v10
	v_mul_f32_e32 v101, 0x3f6eb680, v77
	v_mul_f32_e32 v77, 0x3f3d2fb0, v77
	;; [unrolled: 1-line block ×4, first 2 shown]
	v_add_f32_e32 v76, v79, v76
	v_sub_f32_e32 v79, v119, v88
	v_add_f32_e32 v11, v25, v11
	v_add_f32_e32 v24, v24, v10
	;; [unrolled: 1-line block ×3, first 2 shown]
	v_mul_f32_e32 v123, 0xbf4c4adb, v98
	v_mul_f32_e32 v98, 0x3f763a35, v98
	v_add_f32_e32 v76, v79, v76
	v_sub_f32_e32 v79, v120, v91
	v_add_f32_e32 v11, v27, v11
	v_add_f32_e32 v24, v26, v24
	v_mul_f32_e32 v114, 0xbf06c442, v104
	v_mul_f32_e32 v104, 0x3f65296c, v104
	v_add_f32_e32 v76, v79, v76
	v_sub_f32_e32 v44, v108, v98
	v_add_f32_e32 v11, v29, v11
	v_add_f32_e32 v24, v28, v24
	v_sub_f32_e32 v46, v109, v104
	v_mul_f32_e32 v106, 0x3f3d2fb0, v80
	v_add_f32_e32 v44, v44, v76
	v_add_f32_e32 v11, v31, v11
	;; [unrolled: 1-line block ×3, first 2 shown]
	v_sub_f32_e32 v27, v96, v73
	v_mul_f32_e32 v80, 0x3dbcf732, v80
	v_add_f32_e32 v25, v46, v44
	v_add_f32_e32 v44, v75, v101
	;; [unrolled: 1-line block ×4, first 2 shown]
	v_mul_f32_e32 v113, 0x3ee437d1, v84
	v_add_f32_e32 v77, v77, v9
	v_add_f32_e32 v9, v44, v9
	;; [unrolled: 1-line block ×4, first 2 shown]
	v_sub_f32_e32 v27, v102, v72
	v_add_f32_e32 v11, v35, v11
	v_add_f32_e32 v24, v34, v24
	v_mul_f32_e32 v84, 0xbf1a4643, v84
	v_add_f32_e32 v80, v125, v80
	v_mul_f32_e32 v127, 0x3dbcf732, v93
	v_add_f32_e32 v9, v28, v9
	v_add_f32_e32 v28, v82, v113
	v_add_f32_e32 v8, v27, v8
	v_sub_f32_e32 v27, v107, v78
	v_add_f32_e32 v11, v41, v11
	v_add_f32_e32 v24, v40, v24
	v_mul_f32_e32 v93, 0xbf7ba420, v93
	v_add_f32_e32 v77, v80, v77
	v_add_f32_e32 v80, v121, v84
	v_mul_f32_e32 v129, 0xbe8c1d8e, v92
	v_add_f32_e32 v9, v28, v9
	v_add_f32_e32 v28, v127, v86
	v_add_f32_e32 v8, v27, v8
	v_sub_f32_e32 v27, v81, v115
	v_add_f32_e32 v11, v43, v11
	v_add_f32_e32 v24, v42, v24
	v_mul_f32_e32 v92, 0xbf59a7d5, v92
	v_add_f32_e32 v77, v80, v77
	;; [unrolled: 10-line block ×4, first 2 shown]
	v_add_f32_e32 v80, v97, v126
	v_mul_f32_e32 v93, 0xbe3c28d5, v105
	v_mul_f32_e32 v88, 0xbf7ba420, v111
	v_add_f32_e32 v9, v28, v9
	v_add_f32_e32 v28, v84, v95
	;; [unrolled: 1-line block ×3, first 2 shown]
	v_sub_f32_e32 v27, v94, v114
	v_add_f32_e32 v11, v21, v11
	v_add_f32_e32 v20, v20, v24
	v_mul_f32_e32 v92, 0x3f6eb680, v111
	v_add_f32_e32 v77, v80, v77
	v_add_f32_e32 v80, v83, v112
	v_mul_f32_e32 v47, 0x3eb8f4ab, v105
	v_add_f32_e32 v9, v28, v9
	v_add_f32_e32 v21, v88, v100
	;; [unrolled: 1-line block ×3, first 2 shown]
	v_sub_f32_e32 v24, v99, v93
	v_add_f32_e32 v11, v23, v11
	v_add_f32_e32 v22, v22, v20
	v_and_b32_e32 v23, 0xffff, v71
	v_add_f32_e32 v45, v80, v77
	v_add_f32_e32 v77, v92, v116
	v_sub_f32_e32 v26, v110, v47
	v_add_f32_e32 v21, v21, v9
	v_add_f32_e32 v20, v24, v8
	;; [unrolled: 1-line block ×4, first 2 shown]
	v_add_lshl_u32 v8, v68, v23, 3
	v_add_f32_e32 v10, v77, v45
	v_add_f32_e32 v9, v26, v25
	ds_write2_b64 v8, v[4:5], v[20:21] offset1:1
	ds_write2_b64 v8, v[9:10], v[6:7] offset0:2 offset1:3
	ds_write2_b64 v8, v[12:13], v[14:15] offset0:4 offset1:5
	;; [unrolled: 1-line block ×7, first 2 shown]
	ds_write_b64 v8, v[61:62] offset:128
.LBB0_7:
	s_or_b32 exec_lo, exec_lo, s2
	v_lshlrev_b32_e32 v4, 4, v69
	s_load_dwordx4 s[0:3], s[0:1], 0x0
	s_waitcnt lgkmcnt(0)
	s_barrier
	buffer_gl0_inv
	global_load_dwordx4 v[8:11], v4, s[4:5]
	v_add_lshl_u32 v31, v68, v69, 3
	ds_read2_b64 v[20:23], v31 offset1:17
	ds_read_b64 v[4:5], v31 offset:272
	v_lshl_add_u32 v30, v69, 3, v70
	s_waitcnt vmcnt(0) lgkmcnt(1)
	v_mul_f32_e32 v24, v23, v9
	s_waitcnt lgkmcnt(0)
	v_mul_f32_e32 v25, v5, v11
	v_mul_f32_e32 v26, v22, v9
	;; [unrolled: 1-line block ×3, first 2 shown]
	v_fma_f32 v22, v22, v8, -v24
	v_fma_f32 v24, v4, v10, -v25
	v_fmac_f32_e32 v26, v23, v8
	v_fmac_f32_e32 v27, v5, v10
	v_add_f32_e32 v23, v20, v22
	v_add_f32_e32 v4, v22, v24
	v_sub_f32_e32 v28, v22, v24
	v_add_f32_e32 v5, v26, v27
	v_sub_f32_e32 v25, v26, v27
	v_add_f32_e32 v26, v21, v26
	v_fma_f32 v4, -0.5, v4, v20
	v_add_f32_e32 v20, v23, v24
	v_fma_f32 v5, -0.5, v5, v21
	v_add_f32_e32 v21, v26, v27
	v_fmamk_f32 v22, v25, 0x3f5db3d7, v4
	v_fmac_f32_e32 v4, 0xbf5db3d7, v25
	v_fmamk_f32 v23, v28, 0xbf5db3d7, v5
	v_fmac_f32_e32 v5, 0x3f5db3d7, v28
	ds_write2_b64 v30, v[20:21], v[22:23] offset1:17
	ds_write_b64 v30, v[4:5] offset:272
	s_waitcnt lgkmcnt(0)
	s_barrier
	buffer_gl0_inv
	s_and_saveexec_b32 s8, vcc_lo
	s_cbranch_execz .LBB0_9
; %bb.8:
	s_add_u32 s4, s6, 0x198
	s_addc_u32 s5, s7, 0
	s_clause 0x10
	global_load_dwordx2 v[28:29], v64, s[6:7] offset:408
	global_load_dwordx2 v[84:85], v64, s[4:5] offset:24
	global_load_dwordx2 v[86:87], v64, s[4:5] offset:48
	global_load_dwordx2 v[88:89], v64, s[4:5] offset:72
	global_load_dwordx2 v[90:91], v64, s[4:5] offset:96
	global_load_dwordx2 v[92:93], v64, s[4:5] offset:120
	global_load_dwordx2 v[94:95], v64, s[4:5] offset:144
	global_load_dwordx2 v[96:97], v64, s[4:5] offset:168
	global_load_dwordx2 v[98:99], v64, s[4:5] offset:192
	global_load_dwordx2 v[100:101], v64, s[4:5] offset:216
	global_load_dwordx2 v[102:103], v64, s[4:5] offset:240
	global_load_dwordx2 v[104:105], v64, s[4:5] offset:264
	global_load_dwordx2 v[106:107], v64, s[4:5] offset:288
	global_load_dwordx2 v[108:109], v64, s[4:5] offset:312
	global_load_dwordx2 v[110:111], v64, s[4:5] offset:336
	global_load_dwordx2 v[112:113], v64, s[4:5] offset:360
	global_load_dwordx2 v[114:115], v64, s[4:5] offset:384
	ds_read2_b64 v[24:27], v30 offset1:3
	ds_read2_b64 v[32:35], v30 offset0:6 offset1:9
	ds_read2_b64 v[36:39], v30 offset0:12 offset1:15
	;; [unrolled: 1-line block ×7, first 2 shown]
	ds_read_b64 v[116:117], v30 offset:384
	s_waitcnt vmcnt(16) lgkmcnt(8)
	v_mul_f32_e32 v118, v25, v29
	v_mul_f32_e32 v119, v24, v29
	s_waitcnt vmcnt(15)
	v_mul_f32_e32 v120, v27, v85
	v_mul_f32_e32 v29, v26, v85
	s_waitcnt vmcnt(14) lgkmcnt(7)
	v_mul_f32_e32 v121, v33, v87
	v_mul_f32_e32 v85, v32, v87
	s_waitcnt vmcnt(13)
	v_mul_f32_e32 v122, v35, v89
	v_mul_f32_e32 v87, v34, v89
	;; [unrolled: 6-line block ×8, first 2 shown]
	s_waitcnt vmcnt(0) lgkmcnt(0)
	v_mul_f32_e32 v135, v117, v115
	v_mul_f32_e32 v113, v116, v115
	v_fma_f32 v118, v24, v28, -v118
	v_fmac_f32_e32 v119, v25, v28
	v_fma_f32 v28, v26, v84, -v120
	v_fmac_f32_e32 v29, v27, v84
	;; [unrolled: 2-line block ×17, first 2 shown]
	ds_write2_b64 v30, v[118:119], v[28:29] offset1:3
	ds_write2_b64 v30, v[84:85], v[86:87] offset0:6 offset1:9
	ds_write2_b64 v30, v[88:89], v[90:91] offset0:12 offset1:15
	;; [unrolled: 1-line block ×7, first 2 shown]
	ds_write_b64 v30, v[112:113] offset:384
.LBB0_9:
	s_or_b32 exec_lo, exec_lo, s8
	s_waitcnt lgkmcnt(0)
	s_barrier
	buffer_gl0_inv
	s_and_saveexec_b32 s4, vcc_lo
	s_cbranch_execz .LBB0_11
; %bb.10:
	ds_read2_b64 v[20:23], v30 offset1:3
	ds_read2_b64 v[4:7], v30 offset0:6 offset1:9
	ds_read2_b64 v[12:15], v30 offset0:12 offset1:15
	;; [unrolled: 1-line block ×7, first 2 shown]
	ds_read_b64 v[61:62], v30 offset:384
.LBB0_11:
	s_or_b32 exec_lo, exec_lo, s4
	s_waitcnt lgkmcnt(0)
	s_barrier
	buffer_gl0_inv
	s_and_saveexec_b32 s4, vcc_lo
	s_cbranch_execz .LBB0_13
; %bb.12:
	v_add_f32_e32 v140, v62, v23
	v_sub_f32_e32 v37, v22, v61
	v_add_f32_e32 v134, v3, v5
	v_sub_f32_e32 v34, v4, v2
	v_add_f32_e32 v132, v1, v7
	v_mul_f32_e32 v78, 0xbf7ba420, v140
	v_sub_f32_e32 v35, v6, v0
	v_mul_f32_e32 v79, 0x3f6eb680, v134
	v_sub_f32_e32 v133, v12, v18
	v_mul_f32_e32 v80, 0xbf59a7d5, v132
	v_fmamk_f32 v24, v37, 0x3e3c28d5, v78
	v_add_f32_e32 v32, v13, v19
	v_fmamk_f32 v25, v34, 0xbeb8f4ab, v79
	v_sub_f32_e32 v111, v14, v16
	v_mul_f32_e32 v82, 0x3f2c7751, v133
	v_add_f32_e32 v24, v21, v24
	v_fmamk_f32 v26, v35, 0x3f06c442, v80
	v_sub_f32_e32 v147, v23, v62
	v_add_f32_e32 v33, v15, v17
	v_sub_f32_e32 v113, v48, v54
	v_add_f32_e32 v24, v25, v24
	v_mul_f32_e32 v83, 0xbf4c4adb, v111
	v_fma_f32 v25, 0x3f3d2fb0, v32, -v82
	v_add_f32_e32 v39, v61, v22
	v_mul_f32_e32 v89, 0xbe3c28d5, v147
	v_add_f32_e32 v24, v26, v24
	v_sub_f32_e32 v149, v5, v3
	v_add_f32_e32 v36, v49, v55
	v_sub_f32_e32 v108, v50, v52
	v_mul_f32_e32 v73, 0x3f65296c, v113
	v_fma_f32 v26, 0xbf1a4643, v33, -v83
	v_add_f32_e32 v24, v25, v24
	v_add_f32_e32 v41, v2, v4
	v_fmamk_f32 v27, v39, 0xbf7ba420, v89
	v_mul_f32_e32 v91, 0x3eb8f4ab, v149
	v_sub_f32_e32 v150, v7, v1
	v_fma_f32 v25, 0x3ee437d1, v36, -v73
	v_add_f32_e32 v24, v26, v24
	v_add_f32_e32 v38, v51, v53
	v_mul_f32_e32 v77, 0xbf763a35, v108
	v_add_f32_e32 v26, v20, v27
	v_fmamk_f32 v27, v41, 0x3f6eb680, v91
	v_add_f32_e32 v42, v0, v6
	v_mul_f32_e32 v84, 0xbf06c442, v150
	v_sub_f32_e32 v151, v13, v19
	v_add_f32_e32 v24, v25, v24
	v_fma_f32 v25, 0xbe8c1d8e, v38, -v77
	v_add_f32_e32 v26, v27, v26
	v_fmamk_f32 v27, v42, 0xbf59a7d5, v84
	v_add_f32_e32 v43, v12, v18
	v_mul_f32_e32 v74, 0x3f2c7751, v151
	v_sub_f32_e32 v145, v15, v17
	v_add_f32_e32 v24, v25, v24
	v_add_f32_e32 v25, v27, v26
	;; [unrolled: 1-line block ×3, first 2 shown]
	v_fmamk_f32 v26, v43, 0x3f3d2fb0, v74
	v_mul_f32_e32 v75, 0xbf4c4adb, v145
	v_sub_f32_e32 v148, v49, v55
	v_mul_f32_e32 v105, 0xbf59a7d5, v140
	v_sub_f32_e32 v141, v56, v58
	v_add_f32_e32 v25, v26, v25
	v_fmamk_f32 v26, v44, 0xbf1a4643, v75
	v_add_f32_e32 v45, v48, v54
	v_mul_f32_e32 v81, 0x3f65296c, v148
	v_sub_f32_e32 v152, v51, v53
	v_mul_f32_e32 v101, 0x3ee437d1, v134
	v_add_f32_e32 v25, v26, v25
	v_fmamk_f32 v26, v37, 0x3f06c442, v105
	v_add_f32_e32 v40, v57, v59
	v_mul_f32_e32 v72, 0x3f7ee86f, v141
	v_fmamk_f32 v27, v45, 0x3ee437d1, v81
	v_add_f32_e32 v46, v50, v52
	v_mul_f32_e32 v76, 0xbf763a35, v152
	v_add_f32_e32 v26, v21, v26
	v_fmamk_f32 v28, v34, 0xbf65296c, v101
	v_mul_f32_e32 v100, 0x3dbcf732, v132
	v_fma_f32 v29, 0x3dbcf732, v40, -v72
	v_add_f32_e32 v27, v27, v25
	v_fmamk_f32 v47, v46, 0xbe8c1d8e, v76
	v_add_f32_e32 v26, v28, v26
	v_fmamk_f32 v28, v35, 0x3f7ee86f, v100
	v_mul_f32_e32 v95, 0x3f4c4adb, v133
	v_add_f32_e32 v25, v29, v24
	v_add_f32_e32 v24, v47, v27
	v_sub_f32_e32 v153, v57, v59
	v_add_f32_e32 v26, v28, v26
	v_fma_f32 v27, 0xbf1a4643, v32, -v95
	v_mul_f32_e32 v90, 0xbeb8f4ab, v111
	v_mul_f32_e32 v127, 0xbf06c442, v147
	v_add_f32_e32 v47, v56, v58
	v_mul_f32_e32 v85, 0x3f7ee86f, v153
	v_add_f32_e32 v26, v27, v26
	v_fma_f32 v27, 0x3f6eb680, v33, -v90
	v_mul_f32_e32 v96, 0xbe3c28d5, v113
	v_fmamk_f32 v29, v39, 0xbf59a7d5, v127
	v_mul_f32_e32 v129, 0x3f65296c, v149
	v_fmamk_f32 v28, v47, 0x3dbcf732, v85
	v_add_f32_e32 v26, v27, v26
	v_fma_f32 v27, 0xbf7ba420, v36, -v96
	v_mul_f32_e32 v92, 0x3f2c7751, v108
	v_add_f32_e32 v29, v20, v29
	v_fmamk_f32 v86, v41, 0x3ee437d1, v129
	v_mul_f32_e32 v116, 0xbf7ee86f, v150
	v_add_f32_e32 v26, v27, v26
	v_fma_f32 v27, 0x3f3d2fb0, v38, -v92
	v_add_f32_e32 v24, v28, v24
	v_add_f32_e32 v28, v86, v29
	v_fmamk_f32 v29, v42, 0x3dbcf732, v116
	v_mul_f32_e32 v109, 0x3f4c4adb, v151
	v_mul_f32_e32 v102, 0xbf1a4643, v140
	v_add_f32_e32 v26, v27, v26
	v_mul_f32_e32 v125, 0xbeb8f4ab, v145
	v_add_f32_e32 v27, v29, v28
	v_fmamk_f32 v28, v43, 0xbf1a4643, v109
	v_fmamk_f32 v86, v37, 0x3f4c4adb, v102
	v_mul_f32_e32 v97, 0xbe8c1d8e, v134
	v_mul_f32_e32 v98, 0xbf763a35, v141
	;; [unrolled: 1-line block ×3, first 2 shown]
	v_add_f32_e32 v27, v28, v27
	v_fmamk_f32 v28, v44, 0x3f6eb680, v125
	v_add_f32_e32 v87, v21, v86
	v_fmamk_f32 v88, v34, 0xbf763a35, v97
	v_mul_f32_e32 v86, 0x3f6eb680, v132
	v_fma_f32 v29, 0xbe8c1d8e, v40, -v98
	v_add_f32_e32 v27, v28, v27
	v_fmamk_f32 v28, v45, 0xbf7ba420, v126
	v_add_f32_e32 v88, v88, v87
	v_fmamk_f32 v93, v35, 0x3eb8f4ab, v86
	v_mul_f32_e32 v87, 0xbf06c442, v133
	v_mul_f32_e32 v114, 0x3f2c7751, v152
	v_add_f32_e32 v28, v28, v27
	v_add_f32_e32 v27, v29, v26
	;; [unrolled: 1-line block ×3, first 2 shown]
	v_fma_f32 v29, 0xbf59a7d5, v32, -v87
	v_mul_f32_e32 v88, 0x3f7ee86f, v111
	v_mul_f32_e32 v117, 0xbf4c4adb, v147
	v_fmamk_f32 v94, v46, 0x3f3d2fb0, v114
	v_mul_f32_e32 v104, 0xbf763a35, v153
	v_add_f32_e32 v26, v29, v26
	v_fma_f32 v29, 0x3dbcf732, v33, -v88
	v_mul_f32_e32 v93, 0xbf2c7751, v113
	v_fmamk_f32 v103, v39, 0xbf1a4643, v117
	v_mul_f32_e32 v119, 0x3f763a35, v149
	v_add_f32_e32 v28, v94, v28
	v_fmamk_f32 v99, v47, 0xbe8c1d8e, v104
	v_add_f32_e32 v26, v29, v26
	v_fma_f32 v29, 0x3f3d2fb0, v36, -v93
	v_add_f32_e32 v103, v20, v103
	v_fmamk_f32 v107, v41, 0xbe8c1d8e, v119
	v_mul_f32_e32 v106, 0xbeb8f4ab, v150
	v_mul_f32_e32 v135, 0xbe8c1d8e, v140
	v_add_f32_e32 v29, v29, v26
	v_add_f32_e32 v26, v99, v28
	;; [unrolled: 1-line block ×3, first 2 shown]
	v_fmamk_f32 v103, v42, 0x3f6eb680, v106
	v_mul_f32_e32 v107, 0xbf06c442, v151
	v_mul_f32_e32 v94, 0xbe3c28d5, v108
	;; [unrolled: 1-line block ×3, first 2 shown]
	v_fmamk_f32 v112, v37, 0x3f763a35, v135
	v_add_f32_e32 v28, v103, v28
	v_fmamk_f32 v103, v43, 0xbf59a7d5, v107
	v_mul_f32_e32 v136, 0xbf59a7d5, v134
	v_fma_f32 v110, 0xbf7ba420, v38, -v94
	v_mul_f32_e32 v99, 0x3f65296c, v141
	v_mul_f32_e32 v121, 0xbf2c7751, v148
	v_add_f32_e32 v28, v103, v28
	v_fmamk_f32 v103, v44, 0x3dbcf732, v120
	v_add_f32_e32 v112, v21, v112
	v_fmamk_f32 v115, v34, 0xbf06c442, v136
	v_mul_f32_e32 v137, 0x3f3d2fb0, v132
	v_add_f32_e32 v29, v110, v29
	v_fma_f32 v110, 0x3ee437d1, v40, -v99
	v_add_f32_e32 v28, v103, v28
	v_fmamk_f32 v103, v45, 0x3f3d2fb0, v121
	v_mul_f32_e32 v122, 0xbe3c28d5, v152
	v_add_f32_e32 v112, v115, v112
	v_fmamk_f32 v115, v35, 0xbf2c7751, v137
	v_mul_f32_e32 v138, 0xbf65296c, v133
	v_mul_f32_e32 v142, 0xbf763a35, v147
	v_add_f32_e32 v28, v103, v28
	v_fmamk_f32 v103, v46, 0xbf7ba420, v122
	v_add_f32_e32 v29, v110, v29
	v_add_f32_e32 v110, v115, v112
	v_fma_f32 v112, 0x3ee437d1, v32, -v138
	v_mul_f32_e32 v139, 0xbe3c28d5, v111
	v_mul_f32_e32 v118, 0x3f65296c, v153
	v_fmamk_f32 v115, v39, 0xbe8c1d8e, v142
	v_mul_f32_e32 v144, 0x3f06c442, v149
	v_add_f32_e32 v28, v103, v28
	v_add_f32_e32 v103, v112, v110
	v_fma_f32 v110, 0xbf7ba420, v33, -v139
	v_mul_f32_e32 v143, 0x3f7ee86f, v113
	v_fmamk_f32 v112, v47, 0x3ee437d1, v118
	v_add_f32_e32 v115, v20, v115
	v_fmamk_f32 v128, v41, 0xbf59a7d5, v144
	v_mul_f32_e32 v146, 0x3dbcf732, v140
	v_add_f32_e32 v103, v110, v103
	v_fma_f32 v110, 0x3dbcf732, v36, -v143
	v_mul_f32_e32 v123, 0xbeb8f4ab, v108
	v_mul_f32_e32 v124, 0x3f2c7751, v150
	v_add_f32_e32 v28, v112, v28
	v_add_f32_e32 v112, v128, v115
	v_fmamk_f32 v131, v37, 0x3f7ee86f, v146
	v_mul_f32_e32 v128, 0xbf7ba420, v134
	v_add_f32_e32 v110, v110, v103
	v_fma_f32 v130, 0x3f6eb680, v38, -v123
	v_fmamk_f32 v115, v42, 0x3f3d2fb0, v124
	v_mul_f32_e32 v103, 0xbf65296c, v151
	v_add_f32_e32 v157, v21, v131
	v_fmamk_f32 v158, v34, 0x3e3c28d5, v128
	v_add_f32_e32 v155, v130, v110
	v_add_f32_e32 v112, v115, v112
	v_fmamk_f32 v115, v43, 0x3ee437d1, v103
	v_mul_f32_e32 v110, 0xbe3c28d5, v145
	v_add_f32_e32 v157, v158, v157
	v_add_f32_e32 v23, v23, v21
	;; [unrolled: 1-line block ×4, first 2 shown]
	v_fmamk_f32 v154, v44, 0xbf7ba420, v110
	v_mul_f32_e32 v112, 0x3f7ee86f, v148
	v_mul_f32_e32 v131, 0xbe8c1d8e, v132
	v_add_f32_e32 v5, v5, v23
	v_add_f32_e32 v4, v4, v158
	v_mul_f32_e32 v130, 0xbf4c4adb, v141
	v_add_f32_e32 v154, v154, v115
	v_fmamk_f32 v159, v45, 0x3dbcf732, v112
	v_mul_f32_e32 v115, 0xbeb8f4ab, v152
	v_fmamk_f32 v160, v35, 0xbf763a35, v131
	v_mul_f32_e32 v22, 0x3eb8f4ab, v133
	v_add_f32_e32 v7, v7, v5
	v_add_f32_e32 v4, v6, v4
	v_fma_f32 v156, 0xbf1a4643, v40, -v130
	v_add_f32_e32 v159, v159, v154
	v_fmamk_f32 v158, v46, 0x3f6eb680, v115
	v_add_f32_e32 v157, v160, v157
	v_fma_f32 v160, 0x3f6eb680, v32, -v22
	v_mul_f32_e32 v154, 0xbf7ee86f, v147
	v_add_f32_e32 v7, v13, v7
	v_add_f32_e32 v4, v12, v4
	;; [unrolled: 1-line block ×5, first 2 shown]
	v_fmamk_f32 v157, v39, 0x3dbcf732, v154
	v_mul_f32_e32 v155, 0xbe3c28d5, v149
	v_mul_f32_e32 v156, 0xbf65296c, v111
	v_add_f32_e32 v7, v15, v7
	v_add_f32_e32 v14, v14, v4
	v_mul_f32_e32 v23, 0xbf4c4adb, v153
	v_add_f32_e32 v12, v20, v157
	v_fmamk_f32 v13, v41, 0xbf7ba420, v155
	v_mul_f32_e32 v158, 0x3f763a35, v150
	v_fma_f32 v4, 0x3ee437d1, v33, -v156
	v_mul_f32_e32 v157, 0xbf06c442, v113
	v_add_f32_e32 v7, v49, v7
	v_add_f32_e32 v14, v48, v14
	v_fmamk_f32 v15, v47, 0xbf1a4643, v23
	v_add_f32_e32 v12, v13, v12
	v_fmamk_f32 v13, v42, 0xbe8c1d8e, v158
	v_add_f32_e32 v160, v4, v159
	v_mul_f32_e32 v159, 0x3eb8f4ab, v151
	v_fma_f32 v161, 0xbf59a7d5, v36, -v157
	v_add_f32_e32 v7, v51, v7
	v_add_f32_e32 v14, v50, v14
	;; [unrolled: 1-line block ×4, first 2 shown]
	v_fmamk_f32 v12, v43, 0x3f6eb680, v159
	v_add_f32_e32 v13, v161, v160
	v_mul_f32_e32 v160, 0xbf65296c, v145
	v_add_f32_e32 v7, v57, v7
	v_add_f32_e32 v14, v56, v14
	;; [unrolled: 1-line block ×3, first 2 shown]
	v_mul_f32_e32 v50, 0x3ee437d1, v140
	v_fmamk_f32 v48, v44, 0x3ee437d1, v160
	v_add_f32_e32 v7, v59, v7
	v_add_f32_e32 v57, v58, v14
	v_mul_f32_e32 v15, 0x3f4c4adb, v108
	v_fmamk_f32 v49, v37, 0x3f65296c, v50
	v_add_f32_e32 v6, v48, v6
	v_mul_f32_e32 v48, 0xbf1a4643, v134
	v_add_f32_e32 v7, v53, v7
	v_add_f32_e32 v53, v52, v57
	v_fma_f32 v12, 0xbf1a4643, v38, -v15
	v_add_f32_e32 v49, v21, v49
	v_fmamk_f32 v59, v34, 0x3f4c4adb, v48
	v_mul_f32_e32 v14, 0xbf7ba420, v132
	v_mul_f32_e32 v52, 0xbf65296c, v147
	v_add_f32_e32 v7, v55, v7
	v_add_f32_e32 v53, v54, v53
	;; [unrolled: 1-line block ×4, first 2 shown]
	v_fmamk_f32 v57, v35, 0xbe3c28d5, v14
	v_mul_f32_e32 v49, 0x3f763a35, v133
	v_fmamk_f32 v55, v39, 0x3ee437d1, v52
	v_add_f32_e32 v7, v17, v7
	v_add_f32_e32 v17, v16, v53
	v_mul_f32_e32 v53, 0xbf4c4adb, v149
	v_add_f32_e32 v13, v57, v13
	v_fma_f32 v54, 0xbe8c1d8e, v32, -v49
	v_add_f32_e32 v55, v20, v55
	v_add_f32_e32 v7, v19, v7
	;; [unrolled: 1-line block ×3, first 2 shown]
	v_fmamk_f32 v17, v41, 0xbf1a4643, v53
	v_mul_f32_e32 v18, 0x3e3c28d5, v150
	v_mul_f32_e32 v51, 0xbf06c442, v148
	v_add_f32_e32 v13, v54, v13
	v_mul_f32_e32 v161, 0x3f4c4adb, v152
	v_add_f32_e32 v54, v17, v55
	v_fmamk_f32 v55, v42, 0xbf7ba420, v18
	v_mul_f32_e32 v17, 0x3f763a35, v151
	v_fmamk_f32 v58, v45, 0xbf59a7d5, v51
	v_mul_f32_e32 v16, 0x3f2c7751, v111
	v_add_f32_e32 v1, v1, v7
	v_add_f32_e32 v0, v0, v19
	;; [unrolled: 1-line block ×3, first 2 shown]
	v_fmamk_f32 v55, v43, 0xbe8c1d8e, v17
	v_mul_f32_e32 v19, 0x3f2c7751, v145
	v_mul_f32_e32 v56, 0x3f2c7751, v141
	v_add_f32_e32 v6, v58, v6
	v_fmamk_f32 v57, v46, 0xbf1a4643, v161
	v_fma_f32 v58, 0x3f3d2fb0, v33, -v16
	v_add_f32_e32 v1, v3, v1
	v_add_f32_e32 v0, v2, v0
	v_mul_f32_e32 v54, 0xbeb8f4ab, v113
	v_add_f32_e32 v2, v55, v7
	v_fmamk_f32 v3, v44, 0x3f3d2fb0, v19
	v_mul_f32_e32 v55, 0xbeb8f4ab, v148
	v_add_f32_e32 v6, v57, v6
	v_fma_f32 v57, 0x3f3d2fb0, v40, -v56
	v_add_f32_e32 v7, v58, v13
	v_mul_f32_e32 v166, 0x3f2c7751, v153
	v_fma_f32 v13, 0x3f6eb680, v36, -v54
	v_add_f32_e32 v58, v3, v2
	v_add_f32_e32 v2, v61, v0
	v_fmamk_f32 v0, v45, 0x3f6eb680, v55
	v_mul_f32_e32 v162, 0xbf7ee86f, v108
	v_mul_f32_e32 v61, 0xbf7ee86f, v152
	v_add_f32_e32 v3, v62, v1
	v_fmamk_f32 v59, v47, 0x3f3d2fb0, v166
	v_add_f32_e32 v7, v13, v7
	v_add_f32_e32 v13, v0, v58
	v_fma_f32 v58, 0x3dbcf732, v38, -v162
	v_add_f32_e32 v1, v57, v12
	v_mul_f32_e32 v164, 0xbf06c442, v141
	v_fmamk_f32 v12, v46, 0x3dbcf732, v61
	v_mul_f32_e32 v171, 0x3f3d2fb0, v140
	v_add_f32_e32 v0, v59, v6
	v_add_f32_e32 v6, v58, v7
	v_fma_f32 v7, 0xbf59a7d5, v40, -v164
	v_add_f32_e32 v12, v12, v13
	v_fmamk_f32 v13, v37, 0x3f2c7751, v171
	v_mul_f32_e32 v172, 0x3dbcf732, v134
	v_mul_f32_e32 v167, 0xbf2c7751, v147
	v_add_f32_e32 v7, v7, v6
	v_mul_f32_e32 v175, 0xbf1a4643, v132
	v_add_f32_e32 v6, v21, v13
	v_fmamk_f32 v13, v34, 0x3f7ee86f, v172
	v_fmamk_f32 v57, v39, 0x3f3d2fb0, v167
	v_mul_f32_e32 v169, 0xbf7ee86f, v149
	v_mul_f32_e32 v176, 0xbe3c28d5, v133
	v_mul_f32_e32 v165, 0xbf06c442, v153
	v_add_f32_e32 v6, v13, v6
	v_fmamk_f32 v13, v35, 0x3f4c4adb, v175
	v_add_f32_e32 v59, v20, v57
	v_fmamk_f32 v62, v41, 0x3dbcf732, v169
	v_mul_f32_e32 v57, 0xbf4c4adb, v150
	v_mul_f32_e32 v177, 0x3f06c442, v111
	v_add_f32_e32 v6, v13, v6
	v_fma_f32 v13, 0xbf7ba420, v32, -v176
	v_add_f32_e32 v62, v62, v59
	v_fmamk_f32 v163, v42, 0xbf1a4643, v57
	v_mul_f32_e32 v59, 0xbe3c28d5, v151
	v_fmamk_f32 v58, v47, 0xbf59a7d5, v165
	v_add_f32_e32 v6, v13, v6
	v_fma_f32 v13, 0xbf59a7d5, v33, -v177
	v_mul_f32_e32 v174, 0x3f763a35, v113
	v_add_f32_e32 v163, v163, v62
	v_fmamk_f32 v168, v43, 0xbf7ba420, v59
	v_mul_f32_e32 v62, 0x3f06c442, v145
	v_add_f32_e32 v13, v13, v6
	v_fma_f32 v170, 0xbe8c1d8e, v36, -v174
	v_add_f32_e32 v6, v58, v12
	v_add_f32_e32 v12, v168, v163
	v_fmamk_f32 v58, v44, 0xbf59a7d5, v62
	v_mul_f32_e32 v163, 0x3f763a35, v148
	v_mul_f32_e32 v168, 0x3f6eb680, v140
	v_add_f32_e32 v13, v170, v13
	v_mul_f32_e32 v173, 0x3f65296c, v108
	v_add_f32_e32 v12, v58, v12
	v_fmamk_f32 v58, v45, 0xbe8c1d8e, v163
	v_mul_f32_e32 v140, 0x3f65296c, v152
	v_fmamk_f32 v170, v37, 0x3eb8f4ab, v168
	v_mul_f32_e32 v134, 0x3f3d2fb0, v134
	v_fma_f32 v178, 0x3ee437d1, v38, -v173
	v_add_f32_e32 v12, v58, v12
	v_fmamk_f32 v179, v46, 0x3ee437d1, v140
	v_mul_f32_e32 v58, 0x3eb8f4ab, v141
	v_add_f32_e32 v180, v21, v170
	v_fmamk_f32 v181, v34, 0x3f2c7751, v134
	v_mul_f32_e32 v170, 0x3ee437d1, v132
	v_add_f32_e32 v13, v178, v13
	v_fma_f32 v132, 0x3f6eb680, v40, -v58
	v_add_f32_e32 v12, v179, v12
	v_add_f32_e32 v178, v181, v180
	v_fmamk_f32 v179, v35, 0x3f65296c, v170
	v_mul_f32_e32 v133, 0xbf7ee86f, v133
	v_mul_f32_e32 v147, 0xbeb8f4ab, v147
	v_add_f32_e32 v13, v132, v13
	v_mul_f32_e32 v132, 0x3eb8f4ab, v153
	v_add_f32_e32 v178, v179, v178
	v_fma_f32 v179, 0x3dbcf732, v32, -v133
	v_mul_f32_e32 v111, 0xbf763a35, v111
	v_fmamk_f32 v181, v39, 0x3f6eb680, v147
	v_mul_f32_e32 v149, 0xbf2c7751, v149
	v_fmamk_f32 v180, v47, 0x3f6eb680, v132
	v_add_f32_e32 v178, v179, v178
	v_fma_f32 v179, 0xbe8c1d8e, v33, -v111
	v_mul_f32_e32 v113, 0xbf4c4adb, v113
	v_add_f32_e32 v181, v20, v181
	v_fmamk_f32 v182, v41, 0x3f3d2fb0, v149
	v_mul_f32_e32 v150, 0xbf65296c, v150
	v_add_f32_e32 v178, v179, v178
	v_fma_f32 v179, 0xbf1a4643, v36, -v113
	v_add_f32_e32 v12, v180, v12
	v_add_f32_e32 v180, v182, v181
	v_fmamk_f32 v181, v42, 0x3ee437d1, v150
	v_mul_f32_e32 v151, 0xbf7ee86f, v151
	v_fmac_f32_e32 v78, 0xbe3c28d5, v37
	v_add_f32_e32 v178, v179, v178
	v_mul_f32_e32 v145, 0xbf763a35, v145
	v_add_f32_e32 v179, v181, v180
	v_fmamk_f32 v180, v43, 0x3dbcf732, v151
	v_add_f32_e32 v78, v21, v78
	v_fmac_f32_e32 v79, 0x3eb8f4ab, v34
	v_mul_f32_e32 v148, 0xbf4c4adb, v148
	v_fmac_f32_e32 v80, 0xbf06c442, v35
	v_add_f32_e32 v179, v180, v179
	v_fmamk_f32 v180, v44, 0xbe8c1d8e, v145
	v_add_f32_e32 v78, v79, v78
	v_mul_f32_e32 v152, 0xbf06c442, v152
	v_fmac_f32_e32 v82, 0x3f3d2fb0, v32
	v_mul_f32_e32 v153, 0xbe3c28d5, v153
	v_add_f32_e32 v79, v180, v179
	v_fmamk_f32 v179, v45, 0xbf1a4643, v148
	v_add_f32_e32 v78, v80, v78
	v_fmamk_f32 v80, v46, 0xbf59a7d5, v152
	v_fmac_f32_e32 v83, 0xbf1a4643, v33
	v_fmac_f32_e32 v73, 0x3ee437d1, v36
	v_add_f32_e32 v79, v179, v79
	v_add_f32_e32 v78, v82, v78
	v_fma_f32 v82, 0xbf7ba420, v39, -v89
	v_fmamk_f32 v89, v47, 0xbf7ba420, v153
	v_fma_f32 v91, 0x3f6eb680, v41, -v91
	v_add_f32_e32 v80, v80, v79
	v_add_f32_e32 v83, v83, v78
	v_add_f32_e32 v82, v20, v82
	v_fmac_f32_e32 v105, 0xbf06c442, v37
	v_fmac_f32_e32 v77, 0xbe8c1d8e, v38
	v_add_f32_e32 v78, v89, v80
	v_add_f32_e32 v73, v73, v83
	;; [unrolled: 1-line block ×3, first 2 shown]
	v_fma_f32 v82, 0xbf59a7d5, v42, -v84
	v_add_f32_e32 v83, v21, v105
	v_fmac_f32_e32 v101, 0x3f65296c, v34
	v_add_f32_e32 v73, v77, v73
	v_fma_f32 v77, 0xbf59a7d5, v39, -v127
	v_add_f32_e32 v80, v82, v80
	v_fma_f32 v74, 0x3f3d2fb0, v43, -v74
	v_add_f32_e32 v82, v101, v83
	v_fmac_f32_e32 v100, 0xbf7ee86f, v35
	v_add_f32_e32 v77, v20, v77
	v_fma_f32 v83, 0x3ee437d1, v41, -v129
	v_add_f32_e32 v74, v74, v80
	;; [unrolled: 6-line block ×4, first 2 shown]
	v_fma_f32 v75, 0xbe8c1d8e, v46, -v76
	v_add_f32_e32 v76, v90, v80
	v_fmac_f32_e32 v72, 0x3dbcf732, v40
	v_add_f32_e32 v77, v81, v77
	v_fmac_f32_e32 v96, 0xbf7ba420, v36
	v_add_f32_e32 v74, v75, v74
	v_fma_f32 v75, 0x3f6eb680, v44, -v125
	v_add_f32_e32 v73, v72, v73
	v_fma_f32 v72, 0x3dbcf732, v47, -v85
	v_add_f32_e32 v76, v96, v76
	v_fmac_f32_e32 v92, 0x3f3d2fb0, v38
	v_add_f32_e32 v75, v75, v77
	v_fma_f32 v77, 0xbf7ba420, v45, -v126
	v_fmac_f32_e32 v102, 0xbf4c4adb, v37
	v_add_f32_e32 v72, v72, v74
	v_add_f32_e32 v74, v92, v76
	v_fmac_f32_e32 v98, 0xbe8c1d8e, v40
	v_add_f32_e32 v76, v77, v75
	v_fma_f32 v77, 0x3f3d2fb0, v46, -v114
	v_add_f32_e32 v80, v21, v102
	v_fmac_f32_e32 v97, 0x3f763a35, v34
	v_add_f32_e32 v75, v98, v74
	v_fma_f32 v74, 0xbf1a4643, v39, -v117
	v_add_f32_e32 v76, v77, v76
	v_fma_f32 v77, 0xbe8c1d8e, v47, -v104
	v_add_f32_e32 v80, v97, v80
	v_fmac_f32_e32 v86, 0xbeb8f4ab, v35
	v_add_f32_e32 v81, v20, v74
	v_fma_f32 v82, 0xbe8c1d8e, v41, -v119
	v_add_f32_e32 v74, v77, v76
	v_fmac_f32_e32 v87, 0xbf59a7d5, v32
	v_add_f32_e32 v76, v86, v80
	v_fmac_f32_e32 v135, 0xbf763a35, v37
	v_add_f32_e32 v77, v82, v81
	v_fma_f32 v80, 0x3f6eb680, v42, -v106
	v_fmac_f32_e32 v88, 0x3dbcf732, v33
	v_add_f32_e32 v76, v87, v76
	v_add_f32_e32 v81, v21, v135
	v_fmac_f32_e32 v136, 0x3f06c442, v34
	v_add_f32_e32 v77, v80, v77
	v_fma_f32 v80, 0xbf59a7d5, v43, -v107
	v_add_f32_e32 v76, v88, v76
	v_fmac_f32_e32 v93, 0x3f3d2fb0, v36
	v_add_f32_e32 v81, v136, v81
	v_fmac_f32_e32 v137, 0x3f2c7751, v35
	v_add_f32_e32 v77, v80, v77
	v_fma_f32 v80, 0x3dbcf732, v44, -v120
	v_add_f32_e32 v76, v93, v76
	v_fmac_f32_e32 v94, 0xbf7ba420, v38
	;; [unrolled: 6-line block ×3, first 2 shown]
	v_add_f32_e32 v81, v138, v81
	v_fmac_f32_e32 v139, 0xbf7ba420, v33
	v_add_f32_e32 v80, v80, v77
	v_fma_f32 v82, 0xbf7ba420, v46, -v122
	v_add_f32_e32 v77, v99, v76
	v_fma_f32 v76, 0xbe8c1d8e, v39, -v142
	v_add_f32_e32 v81, v139, v81
	v_fmac_f32_e32 v143, 0x3dbcf732, v36
	v_add_f32_e32 v80, v82, v80
	v_fma_f32 v82, 0x3ee437d1, v47, -v118
	v_add_f32_e32 v83, v20, v76
	v_fma_f32 v84, 0xbf59a7d5, v41, -v144
	v_fmac_f32_e32 v146, 0xbf7ee86f, v37
	v_add_f32_e32 v81, v143, v81
	v_fmac_f32_e32 v123, 0x3f6eb680, v38
	v_add_f32_e32 v76, v82, v80
	v_add_f32_e32 v82, v84, v83
	;; [unrolled: 1-line block ×3, first 2 shown]
	v_fmac_f32_e32 v128, 0xbe3c28d5, v34
	v_add_f32_e32 v80, v123, v81
	v_fmac_f32_e32 v130, 0xbf1a4643, v40
	v_fma_f32 v83, 0x3f3d2fb0, v42, -v124
	v_fmac_f32_e32 v131, 0x3f763a35, v35
	v_add_f32_e32 v84, v128, v84
	v_fmac_f32_e32 v22, 0x3f6eb680, v32
	v_add_f32_e32 v81, v130, v80
	v_fma_f32 v80, 0x3dbcf732, v39, -v154
	v_add_f32_e32 v82, v83, v82
	v_fma_f32 v83, 0x3ee437d1, v43, -v103
	;; [unrolled: 2-line block ×3, first 2 shown]
	v_add_f32_e32 v80, v20, v80
	v_fmac_f32_e32 v156, 0x3ee437d1, v33
	v_add_f32_e32 v82, v83, v82
	v_fma_f32 v83, 0xbf7ba420, v44, -v110
	v_add_f32_e32 v22, v22, v84
	v_add_f32_e32 v80, v85, v80
	v_fma_f32 v85, 0xbe8c1d8e, v42, -v158
	v_fmac_f32_e32 v157, 0xbf59a7d5, v36
	v_add_f32_e32 v82, v83, v82
	v_fma_f32 v83, 0x3dbcf732, v45, -v112
	v_add_f32_e32 v22, v156, v22
	v_add_f32_e32 v80, v85, v80
	v_fma_f32 v84, 0x3f6eb680, v43, -v159
	;; [unrolled: 6-line block ×3, first 2 shown]
	v_fma_f32 v23, 0xbf1a4643, v47, -v23
	v_add_f32_e32 v82, v83, v82
	v_fmac_f32_e32 v50, 0xbf65296c, v37
	v_add_f32_e32 v15, v15, v22
	v_fmac_f32_e32 v56, 0x3f3d2fb0, v40
	v_add_f32_e32 v83, v84, v80
	v_add_f32_e32 v80, v23, v82
	;; [unrolled: 1-line block ×3, first 2 shown]
	v_fmac_f32_e32 v48, 0xbf4c4adb, v34
	v_add_f32_e32 v23, v56, v15
	v_fma_f32 v15, 0x3ee437d1, v39, -v52
	v_fmac_f32_e32 v14, 0x3e3c28d5, v35
	v_fmac_f32_e32 v171, 0xbf2c7751, v37
	v_add_f32_e32 v48, v48, v50
	v_fma_f32 v50, 0xbf1a4643, v41, -v53
	v_add_f32_e32 v15, v20, v15
	v_fmac_f32_e32 v49, 0xbe8c1d8e, v32
	v_fma_f32 v18, 0xbf7ba420, v42, -v18
	v_add_f32_e32 v14, v14, v48
	v_add_f32_e32 v48, v21, v171
	;; [unrolled: 1-line block ×3, first 2 shown]
	v_fmac_f32_e32 v172, 0xbf7ee86f, v34
	v_fmac_f32_e32 v16, 0x3f3d2fb0, v33
	v_add_f32_e32 v14, v49, v14
	v_fma_f32 v17, 0xbe8c1d8e, v43, -v17
	v_add_f32_e32 v15, v18, v15
	v_add_f32_e32 v18, v172, v48
	v_fmac_f32_e32 v175, 0xbf4c4adb, v35
	v_add_f32_e32 v14, v16, v14
	v_fmac_f32_e32 v54, 0x3f6eb680, v36
	v_add_f32_e32 v15, v17, v15
	v_fma_f32 v16, 0x3f3d2fb0, v44, -v19
	v_add_f32_e32 v17, v175, v18
	v_fmac_f32_e32 v176, 0xbf7ba420, v32
	v_add_f32_e32 v14, v54, v14
	v_fmac_f32_e32 v162, 0x3dbcf732, v38
	v_add_f32_e32 v15, v16, v15
	v_fma_f32 v16, 0x3f6eb680, v45, -v55
	v_add_f32_e32 v17, v176, v17
	v_fmac_f32_e32 v177, 0xbf59a7d5, v33
	v_add_f32_e32 v14, v162, v14
	v_fmac_f32_e32 v164, 0xbf59a7d5, v40
	v_add_f32_e32 v16, v16, v15
	v_fma_f32 v18, 0x3dbcf732, v46, -v61
	v_add_f32_e32 v17, v177, v17
	v_fmac_f32_e32 v174, 0xbe8c1d8e, v36
	v_add_f32_e32 v15, v164, v14
	v_fma_f32 v14, 0x3f3d2fb0, v39, -v167
	v_add_f32_e32 v16, v18, v16
	v_fma_f32 v18, 0xbf59a7d5, v47, -v165
	v_add_f32_e32 v17, v174, v17
	v_fmac_f32_e32 v173, 0x3ee437d1, v38
	v_add_f32_e32 v19, v20, v14
	v_fma_f32 v48, 0x3dbcf732, v41, -v169
	v_add_f32_e32 v14, v18, v16
	v_fmac_f32_e32 v168, 0xbeb8f4ab, v37
	v_add_f32_e32 v16, v173, v17
	v_fma_f32 v17, 0x3f6eb680, v39, -v147
	v_add_f32_e32 v18, v48, v19
	v_fma_f32 v19, 0xbf1a4643, v42, -v57
	v_add_f32_e32 v21, v21, v168
	v_fmac_f32_e32 v134, 0xbf2c7751, v34
	v_add_f32_e32 v17, v20, v17
	v_fma_f32 v20, 0x3f3d2fb0, v41, -v149
	;; [unrolled: 6-line block ×4, first 2 shown]
	v_mul_f32_e32 v108, 0xbf06c442, v108
	v_add_f32_e32 v18, v19, v18
	v_fma_f32 v19, 0xbe8c1d8e, v45, -v163
	v_add_f32_e32 v21, v133, v21
	v_fmac_f32_e32 v111, 0xbe8c1d8e, v33
	v_add_f32_e32 v17, v20, v17
	v_fma_f32 v20, 0xbe8c1d8e, v44, -v145
	v_fma_f32 v181, 0xbf59a7d5, v38, -v108
	v_mul_f32_e32 v141, 0xbe3c28d5, v141
	v_fma_f32 v51, 0xbf59a7d5, v45, -v51
	v_add_f32_e32 v18, v19, v18
	v_fma_f32 v19, 0x3ee437d1, v46, -v140
	v_add_f32_e32 v21, v111, v21
	v_fmac_f32_e32 v113, 0xbf1a4643, v36
	v_add_f32_e32 v17, v20, v17
	v_fma_f32 v20, 0xbf1a4643, v45, -v148
	v_add_f32_e32 v178, v181, v178
	v_fma_f32 v179, 0xbf7ba420, v40, -v141
	;; [unrolled: 2-line block ×3, first 2 shown]
	v_add_f32_e32 v18, v19, v18
	v_add_f32_e32 v19, v113, v21
	v_fmac_f32_e32 v108, 0xbf59a7d5, v38
	v_add_f32_e32 v17, v20, v17
	v_fma_f32 v20, 0xbf59a7d5, v46, -v152
	v_and_b32_e32 v32, 0xffff, v71
	v_add_f32_e32 v79, v179, v178
	v_add_f32_e32 v22, v51, v22
	v_fma_f32 v51, 0x3f3d2fb0, v47, -v166
	v_fmac_f32_e32 v58, 0x3f6eb680, v40
	v_fma_f32 v21, 0x3f6eb680, v47, -v132
	v_add_f32_e32 v19, v108, v19
	v_fmac_f32_e32 v141, 0xbf7ba420, v40
	v_add_f32_e32 v20, v20, v17
	v_fma_f32 v33, 0xbf7ba420, v47, -v153
	v_lshl_add_u32 v32, v32, 3, v70
	v_add_f32_e32 v22, v51, v22
	v_add_f32_e32 v17, v58, v16
	;; [unrolled: 1-line block ×5, first 2 shown]
	ds_write2_b64 v32, v[2:3], v[78:79] offset1:1
	ds_write2_b64 v32, v[12:13], v[6:7] offset0:2 offset1:3
	ds_write2_b64 v32, v[0:1], v[4:5] offset0:4 offset1:5
	ds_write2_b64 v32, v[28:29], v[26:27] offset0:6 offset1:7
	ds_write2_b64 v32, v[24:25], v[72:73] offset0:8 offset1:9
	ds_write2_b64 v32, v[74:75], v[76:77] offset0:10 offset1:11
	ds_write2_b64 v32, v[80:81], v[22:23] offset0:12 offset1:13
	ds_write2_b64 v32, v[14:15], v[16:17] offset0:14 offset1:15
	ds_write_b64 v32, v[18:19] offset:128
.LBB0_13:
	s_or_b32 exec_lo, exec_lo, s4
	s_waitcnt lgkmcnt(0)
	s_barrier
	buffer_gl0_inv
	ds_read2_b64 v[0:3], v31 offset1:17
	ds_read_b64 v[4:5], v31 offset:272
	s_waitcnt lgkmcnt(1)
	v_mul_f32_e32 v6, v9, v3
	s_waitcnt lgkmcnt(0)
	v_mul_f32_e32 v7, v11, v5
	v_mul_f32_e32 v9, v9, v2
	;; [unrolled: 1-line block ×3, first 2 shown]
	v_fmac_f32_e32 v6, v8, v2
	v_fmac_f32_e32 v7, v10, v4
	v_fma_f32 v2, v8, v3, -v9
	v_fma_f32 v3, v10, v5, -v11
	v_add_f32_e32 v5, v0, v6
	v_add_f32_e32 v4, v6, v7
	;; [unrolled: 1-line block ×4, first 2 shown]
	v_sub_f32_e32 v9, v2, v3
	v_sub_f32_e32 v6, v6, v7
	v_fma_f32 v0, -0.5, v4, v0
	v_add_f32_e32 v2, v5, v7
	v_fma_f32 v1, -0.5, v8, v1
	v_add_f32_e32 v3, v10, v3
	v_fmamk_f32 v4, v9, 0xbf5db3d7, v0
	v_fmac_f32_e32 v0, 0x3f5db3d7, v9
	v_fmamk_f32 v5, v6, 0x3f5db3d7, v1
	v_fmac_f32_e32 v1, 0xbf5db3d7, v6
	ds_write2_b64 v30, v[2:3], v[4:5] offset1:17
	ds_write_b64 v30, v[0:1] offset:272
	s_waitcnt lgkmcnt(0)
	s_barrier
	buffer_gl0_inv
	s_and_b32 exec_lo, exec_lo, vcc_lo
	s_cbranch_execz .LBB0_15
; %bb.14:
	global_load_dwordx2 v[0:1], v64, s[6:7]
	ds_read_b64 v[2:3], v30
	s_mov_b32 s4, 0x14141414
	s_mov_b32 s5, 0x3f941414
	v_mad_u64_u32 v[6:7], null, s0, v69, 0
	v_lshl_add_u32 v11, v68, 3, v64
	s_mul_hi_u32 s8, s0, 24
	s_mul_hi_u32 s10, s0, 48
	s_mul_i32 s9, s0, 48
	s_waitcnt vmcnt(0) lgkmcnt(0)
	v_mul_f32_e32 v4, v3, v1
	v_mul_f32_e32 v1, v2, v1
	v_fmac_f32_e32 v4, v2, v0
	v_fma_f32 v2, v0, v3, -v1
	v_cvt_f64_f32_e32 v[0:1], v4
	v_cvt_f64_f32_e32 v[2:3], v2
	v_mad_u64_u32 v[4:5], null, s2, v60, 0
	s_mul_i32 s2, s1, 24
	s_add_i32 s2, s8, s2
	s_mul_i32 s8, s1, 48
	s_add_i32 s8, s10, s8
	v_mad_u64_u32 v[8:9], null, s3, v60, v[5:6]
	s_mul_i32 s3, s0, 24
	v_mad_u64_u32 v[9:10], null, s1, v69, v[7:8]
	v_mov_b32_e32 v5, v8
	v_mul_f64 v[0:1], v[0:1], s[4:5]
	v_mul_f64 v[2:3], v[2:3], s[4:5]
	v_mov_b32_e32 v7, v9
	v_cvt_f32_f64_e32 v0, v[0:1]
	v_cvt_f32_f64_e32 v1, v[2:3]
	v_lshlrev_b64 v[2:3], 3, v[4:5]
	v_lshlrev_b64 v[4:5], 3, v[6:7]
	v_add_co_u32 v9, vcc_lo, s12, v2
	v_add_co_ci_u32_e32 v10, vcc_lo, s13, v3, vcc_lo
	v_add_co_u32 v4, vcc_lo, v9, v4
	v_add_co_ci_u32_e32 v5, vcc_lo, v10, v5, vcc_lo
	global_store_dwordx2 v[4:5], v[0:1], off
	global_load_dwordx2 v[6:7], v64, s[6:7] offset:24
	ds_read2_b64 v[0:3], v11 offset0:3 offset1:6
	v_add_co_u32 v4, vcc_lo, v4, s3
	v_add_co_ci_u32_e32 v5, vcc_lo, s2, v5, vcc_lo
	s_waitcnt vmcnt(0) lgkmcnt(0)
	v_mul_f32_e32 v8, v1, v7
	v_mul_f32_e32 v7, v0, v7
	v_fmac_f32_e32 v8, v0, v6
	v_fma_f32 v6, v6, v1, -v7
	v_cvt_f64_f32_e32 v[0:1], v8
	v_cvt_f64_f32_e32 v[6:7], v6
	v_mul_f64 v[0:1], v[0:1], s[4:5]
	v_mul_f64 v[6:7], v[6:7], s[4:5]
	v_cvt_f32_f64_e32 v0, v[0:1]
	v_cvt_f32_f64_e32 v1, v[6:7]
	global_store_dwordx2 v[4:5], v[0:1], off
	global_load_dwordx2 v[0:1], v64, s[6:7] offset:48
	v_add_co_u32 v4, vcc_lo, v4, s3
	v_add_co_ci_u32_e32 v5, vcc_lo, s2, v5, vcc_lo
	s_waitcnt vmcnt(0)
	v_mul_f32_e32 v6, v3, v1
	v_mul_f32_e32 v1, v2, v1
	v_fmac_f32_e32 v6, v2, v0
	v_fma_f32 v2, v0, v3, -v1
	v_cvt_f64_f32_e32 v[0:1], v6
	v_cvt_f64_f32_e32 v[2:3], v2
	v_mul_f64 v[0:1], v[0:1], s[4:5]
	v_mul_f64 v[2:3], v[2:3], s[4:5]
	v_cvt_f32_f64_e32 v0, v[0:1]
	v_cvt_f32_f64_e32 v1, v[2:3]
	global_store_dwordx2 v[4:5], v[0:1], off
	global_load_dwordx2 v[6:7], v64, s[6:7] offset:72
	ds_read2_b64 v[0:3], v11 offset0:9 offset1:12
	v_add_co_u32 v4, vcc_lo, v4, s3
	v_add_co_ci_u32_e32 v5, vcc_lo, s2, v5, vcc_lo
	s_waitcnt vmcnt(0) lgkmcnt(0)
	v_mul_f32_e32 v8, v1, v7
	v_mul_f32_e32 v7, v0, v7
	v_fmac_f32_e32 v8, v0, v6
	v_fma_f32 v6, v6, v1, -v7
	v_cvt_f64_f32_e32 v[0:1], v8
	v_cvt_f64_f32_e32 v[6:7], v6
	v_mul_f64 v[0:1], v[0:1], s[4:5]
	v_mul_f64 v[6:7], v[6:7], s[4:5]
	v_cvt_f32_f64_e32 v0, v[0:1]
	v_cvt_f32_f64_e32 v1, v[6:7]
	global_store_dwordx2 v[4:5], v[0:1], off
	global_load_dwordx2 v[0:1], v64, s[6:7] offset:96
	s_waitcnt vmcnt(0)
	v_mul_f32_e32 v6, v3, v1
	v_mul_f32_e32 v1, v2, v1
	v_fmac_f32_e32 v6, v2, v0
	v_fma_f32 v2, v0, v3, -v1
	v_cvt_f64_f32_e32 v[0:1], v6
	v_cvt_f64_f32_e32 v[2:3], v2
	v_mad_u64_u32 v[6:7], null, s0, v67, 0
	v_mad_u64_u32 v[7:8], null, s1, v67, v[7:8]
	v_mul_f64 v[0:1], v[0:1], s[4:5]
	v_mul_f64 v[2:3], v[2:3], s[4:5]
	v_cvt_f32_f64_e32 v0, v[0:1]
	v_cvt_f32_f64_e32 v1, v[2:3]
	v_lshlrev_b64 v[2:3], 3, v[6:7]
	v_add_co_u32 v2, vcc_lo, v9, v2
	v_add_co_ci_u32_e32 v3, vcc_lo, v10, v3, vcc_lo
	v_add_co_u32 v4, vcc_lo, v4, s9
	v_add_co_ci_u32_e32 v5, vcc_lo, s8, v5, vcc_lo
	global_store_dwordx2 v[2:3], v[0:1], off
	global_load_dwordx2 v[6:7], v64, s[6:7] offset:120
	ds_read2_b64 v[0:3], v11 offset0:15 offset1:18
	s_waitcnt vmcnt(0) lgkmcnt(0)
	v_mul_f32_e32 v8, v1, v7
	v_mul_f32_e32 v7, v0, v7
	v_fmac_f32_e32 v8, v0, v6
	v_fma_f32 v6, v6, v1, -v7
	v_cvt_f64_f32_e32 v[0:1], v8
	v_cvt_f64_f32_e32 v[6:7], v6
	v_mul_f64 v[0:1], v[0:1], s[4:5]
	v_mul_f64 v[6:7], v[6:7], s[4:5]
	v_cvt_f32_f64_e32 v0, v[0:1]
	v_cvt_f32_f64_e32 v1, v[6:7]
	global_store_dwordx2 v[4:5], v[0:1], off
	global_load_dwordx2 v[0:1], v64, s[6:7] offset:144
	v_add_co_u32 v4, vcc_lo, v4, s3
	v_add_co_ci_u32_e32 v5, vcc_lo, s2, v5, vcc_lo
	s_waitcnt vmcnt(0)
	v_mul_f32_e32 v6, v3, v1
	v_mul_f32_e32 v1, v2, v1
	v_fmac_f32_e32 v6, v2, v0
	v_fma_f32 v2, v0, v3, -v1
	v_cvt_f64_f32_e32 v[0:1], v6
	v_cvt_f64_f32_e32 v[2:3], v2
	v_mul_f64 v[0:1], v[0:1], s[4:5]
	v_mul_f64 v[2:3], v[2:3], s[4:5]
	v_cvt_f32_f64_e32 v0, v[0:1]
	v_cvt_f32_f64_e32 v1, v[2:3]
	global_store_dwordx2 v[4:5], v[0:1], off
	global_load_dwordx2 v[6:7], v64, s[6:7] offset:168
	ds_read2_b64 v[0:3], v11 offset0:21 offset1:24
	v_add_co_u32 v4, vcc_lo, v4, s3
	v_add_co_ci_u32_e32 v5, vcc_lo, s2, v5, vcc_lo
	s_waitcnt vmcnt(0) lgkmcnt(0)
	v_mul_f32_e32 v8, v1, v7
	v_mul_f32_e32 v7, v0, v7
	v_fmac_f32_e32 v8, v0, v6
	v_fma_f32 v6, v6, v1, -v7
	v_cvt_f64_f32_e32 v[0:1], v8
	v_cvt_f64_f32_e32 v[6:7], v6
	v_mul_f64 v[0:1], v[0:1], s[4:5]
	v_mul_f64 v[6:7], v[6:7], s[4:5]
	v_cvt_f32_f64_e32 v0, v[0:1]
	v_cvt_f32_f64_e32 v1, v[6:7]
	global_store_dwordx2 v[4:5], v[0:1], off
	global_load_dwordx2 v[0:1], v64, s[6:7] offset:192
	s_waitcnt vmcnt(0)
	v_mul_f32_e32 v6, v3, v1
	v_mul_f32_e32 v1, v2, v1
	v_fmac_f32_e32 v6, v2, v0
	v_fma_f32 v2, v0, v3, -v1
	v_cvt_f64_f32_e32 v[0:1], v6
	v_cvt_f64_f32_e32 v[2:3], v2
	v_mad_u64_u32 v[6:7], null, s0, v66, 0
	v_mad_u64_u32 v[7:8], null, s1, v66, v[7:8]
	v_mul_f64 v[0:1], v[0:1], s[4:5]
	v_mul_f64 v[2:3], v[2:3], s[4:5]
	v_cvt_f32_f64_e32 v0, v[0:1]
	v_cvt_f32_f64_e32 v1, v[2:3]
	v_lshlrev_b64 v[2:3], 3, v[6:7]
	v_add_co_u32 v2, vcc_lo, v9, v2
	v_add_co_ci_u32_e32 v3, vcc_lo, v10, v3, vcc_lo
	v_add_co_u32 v4, vcc_lo, v4, s9
	v_add_co_ci_u32_e32 v5, vcc_lo, s8, v5, vcc_lo
	global_store_dwordx2 v[2:3], v[0:1], off
	global_load_dwordx2 v[6:7], v64, s[6:7] offset:216
	ds_read2_b64 v[0:3], v11 offset0:27 offset1:30
	s_waitcnt vmcnt(0) lgkmcnt(0)
	v_mul_f32_e32 v8, v1, v7
	v_mul_f32_e32 v7, v0, v7
	v_fmac_f32_e32 v8, v0, v6
	v_fma_f32 v6, v6, v1, -v7
	v_cvt_f64_f32_e32 v[0:1], v8
	v_cvt_f64_f32_e32 v[6:7], v6
	v_mul_f64 v[0:1], v[0:1], s[4:5]
	v_mul_f64 v[6:7], v[6:7], s[4:5]
	v_cvt_f32_f64_e32 v0, v[0:1]
	v_cvt_f32_f64_e32 v1, v[6:7]
	global_store_dwordx2 v[4:5], v[0:1], off
	global_load_dwordx2 v[0:1], v64, s[6:7] offset:240
	v_add_co_u32 v4, vcc_lo, v4, s3
	v_add_co_ci_u32_e32 v5, vcc_lo, s2, v5, vcc_lo
	s_waitcnt vmcnt(0)
	v_mul_f32_e32 v6, v3, v1
	v_mul_f32_e32 v1, v2, v1
	v_fmac_f32_e32 v6, v2, v0
	v_fma_f32 v2, v0, v3, -v1
	v_cvt_f64_f32_e32 v[0:1], v6
	v_cvt_f64_f32_e32 v[2:3], v2
	v_mul_f64 v[0:1], v[0:1], s[4:5]
	v_mul_f64 v[2:3], v[2:3], s[4:5]
	v_cvt_f32_f64_e32 v0, v[0:1]
	v_cvt_f32_f64_e32 v1, v[2:3]
	global_store_dwordx2 v[4:5], v[0:1], off
	global_load_dwordx2 v[6:7], v64, s[6:7] offset:264
	ds_read2_b64 v[0:3], v11 offset0:33 offset1:36
	v_add_co_u32 v4, vcc_lo, v4, s3
	v_add_co_ci_u32_e32 v5, vcc_lo, s2, v5, vcc_lo
	s_waitcnt vmcnt(0) lgkmcnt(0)
	v_mul_f32_e32 v8, v1, v7
	v_mul_f32_e32 v7, v0, v7
	v_fmac_f32_e32 v8, v0, v6
	v_fma_f32 v6, v6, v1, -v7
	v_cvt_f64_f32_e32 v[0:1], v8
	v_cvt_f64_f32_e32 v[6:7], v6
	v_mul_f64 v[0:1], v[0:1], s[4:5]
	v_mul_f64 v[6:7], v[6:7], s[4:5]
	v_cvt_f32_f64_e32 v0, v[0:1]
	v_cvt_f32_f64_e32 v1, v[6:7]
	global_store_dwordx2 v[4:5], v[0:1], off
	global_load_dwordx2 v[0:1], v64, s[6:7] offset:288
	s_waitcnt vmcnt(0)
	v_mul_f32_e32 v6, v3, v1
	v_mul_f32_e32 v1, v2, v1
	v_fmac_f32_e32 v6, v2, v0
	v_fma_f32 v2, v0, v3, -v1
	v_cvt_f64_f32_e32 v[0:1], v6
	v_cvt_f64_f32_e32 v[2:3], v2
	v_mad_u64_u32 v[6:7], null, s0, v65, 0
	v_mad_u64_u32 v[7:8], null, s1, v65, v[7:8]
	v_mul_f64 v[0:1], v[0:1], s[4:5]
	v_mul_f64 v[2:3], v[2:3], s[4:5]
	v_cvt_f32_f64_e32 v0, v[0:1]
	v_cvt_f32_f64_e32 v1, v[2:3]
	v_lshlrev_b64 v[2:3], 3, v[6:7]
	v_add_co_u32 v2, vcc_lo, v9, v2
	v_add_co_ci_u32_e32 v3, vcc_lo, v10, v3, vcc_lo
	v_add_co_u32 v4, vcc_lo, v4, s9
	v_add_co_ci_u32_e32 v5, vcc_lo, s8, v5, vcc_lo
	global_store_dwordx2 v[2:3], v[0:1], off
	global_load_dwordx2 v[6:7], v64, s[6:7] offset:312
	ds_read2_b64 v[0:3], v11 offset0:39 offset1:42
	s_waitcnt vmcnt(0) lgkmcnt(0)
	v_mul_f32_e32 v8, v1, v7
	v_mul_f32_e32 v7, v0, v7
	v_fmac_f32_e32 v8, v0, v6
	v_fma_f32 v6, v6, v1, -v7
	v_cvt_f64_f32_e32 v[0:1], v8
	v_cvt_f64_f32_e32 v[6:7], v6
	v_mul_f64 v[0:1], v[0:1], s[4:5]
	v_mul_f64 v[6:7], v[6:7], s[4:5]
	v_cvt_f32_f64_e32 v0, v[0:1]
	v_cvt_f32_f64_e32 v1, v[6:7]
	global_store_dwordx2 v[4:5], v[0:1], off
	global_load_dwordx2 v[0:1], v64, s[6:7] offset:336
	v_add_co_u32 v4, vcc_lo, v4, s3
	v_add_co_ci_u32_e32 v5, vcc_lo, s2, v5, vcc_lo
	s_waitcnt vmcnt(0)
	v_mul_f32_e32 v6, v3, v1
	v_mul_f32_e32 v1, v2, v1
	v_fmac_f32_e32 v6, v2, v0
	v_fma_f32 v2, v0, v3, -v1
	v_cvt_f64_f32_e32 v[0:1], v6
	v_cvt_f64_f32_e32 v[2:3], v2
	v_mul_f64 v[0:1], v[0:1], s[4:5]
	v_mul_f64 v[2:3], v[2:3], s[4:5]
	v_cvt_f32_f64_e32 v0, v[0:1]
	v_cvt_f32_f64_e32 v1, v[2:3]
	global_store_dwordx2 v[4:5], v[0:1], off
	global_load_dwordx2 v[6:7], v64, s[6:7] offset:360
	ds_read2_b64 v[0:3], v11 offset0:45 offset1:48
	v_add_co_u32 v4, vcc_lo, v4, s3
	v_add_co_ci_u32_e32 v5, vcc_lo, s2, v5, vcc_lo
	s_waitcnt vmcnt(0) lgkmcnt(0)
	v_mul_f32_e32 v8, v1, v7
	v_mul_f32_e32 v7, v0, v7
	v_fmac_f32_e32 v8, v0, v6
	v_fma_f32 v6, v6, v1, -v7
	v_cvt_f64_f32_e32 v[0:1], v8
	v_cvt_f64_f32_e32 v[6:7], v6
	v_mul_f64 v[0:1], v[0:1], s[4:5]
	v_mul_f64 v[6:7], v[6:7], s[4:5]
	v_cvt_f32_f64_e32 v0, v[0:1]
	v_cvt_f32_f64_e32 v1, v[6:7]
	global_store_dwordx2 v[4:5], v[0:1], off
	global_load_dwordx2 v[0:1], v64, s[6:7] offset:384
	s_waitcnt vmcnt(0)
	v_mul_f32_e32 v4, v3, v1
	v_mul_f32_e32 v1, v2, v1
	v_fmac_f32_e32 v4, v2, v0
	v_fma_f32 v2, v0, v3, -v1
	v_cvt_f64_f32_e32 v[0:1], v4
	v_cvt_f64_f32_e32 v[2:3], v2
	v_mad_u64_u32 v[4:5], null, s0, v63, 0
	v_mad_u64_u32 v[5:6], null, s1, v63, v[5:6]
	v_mul_f64 v[0:1], v[0:1], s[4:5]
	v_mul_f64 v[2:3], v[2:3], s[4:5]
	v_cvt_f32_f64_e32 v0, v[0:1]
	v_cvt_f32_f64_e32 v1, v[2:3]
	v_lshlrev_b64 v[2:3], 3, v[4:5]
	v_add_co_u32 v2, vcc_lo, v9, v2
	v_add_co_ci_u32_e32 v3, vcc_lo, v10, v3, vcc_lo
	global_store_dwordx2 v[2:3], v[0:1], off
.LBB0_15:
	s_endpgm
	.section	.rodata,"a",@progbits
	.p2align	6, 0x0
	.amdhsa_kernel bluestein_single_fwd_len51_dim1_sp_op_CI_CI
		.amdhsa_group_segment_fixed_size 6120
		.amdhsa_private_segment_fixed_size 0
		.amdhsa_kernarg_size 104
		.amdhsa_user_sgpr_count 6
		.amdhsa_user_sgpr_private_segment_buffer 1
		.amdhsa_user_sgpr_dispatch_ptr 0
		.amdhsa_user_sgpr_queue_ptr 0
		.amdhsa_user_sgpr_kernarg_segment_ptr 1
		.amdhsa_user_sgpr_dispatch_id 0
		.amdhsa_user_sgpr_flat_scratch_init 0
		.amdhsa_user_sgpr_private_segment_size 0
		.amdhsa_wavefront_size32 1
		.amdhsa_uses_dynamic_stack 0
		.amdhsa_system_sgpr_private_segment_wavefront_offset 0
		.amdhsa_system_sgpr_workgroup_id_x 1
		.amdhsa_system_sgpr_workgroup_id_y 0
		.amdhsa_system_sgpr_workgroup_id_z 0
		.amdhsa_system_sgpr_workgroup_info 0
		.amdhsa_system_vgpr_workitem_id 0
		.amdhsa_next_free_vgpr 183
		.amdhsa_next_free_sgpr 15
		.amdhsa_reserve_vcc 1
		.amdhsa_reserve_flat_scratch 0
		.amdhsa_float_round_mode_32 0
		.amdhsa_float_round_mode_16_64 0
		.amdhsa_float_denorm_mode_32 3
		.amdhsa_float_denorm_mode_16_64 3
		.amdhsa_dx10_clamp 1
		.amdhsa_ieee_mode 1
		.amdhsa_fp16_overflow 0
		.amdhsa_workgroup_processor_mode 1
		.amdhsa_memory_ordered 1
		.amdhsa_forward_progress 0
		.amdhsa_shared_vgpr_count 0
		.amdhsa_exception_fp_ieee_invalid_op 0
		.amdhsa_exception_fp_denorm_src 0
		.amdhsa_exception_fp_ieee_div_zero 0
		.amdhsa_exception_fp_ieee_overflow 0
		.amdhsa_exception_fp_ieee_underflow 0
		.amdhsa_exception_fp_ieee_inexact 0
		.amdhsa_exception_int_div_zero 0
	.end_amdhsa_kernel
	.text
.Lfunc_end0:
	.size	bluestein_single_fwd_len51_dim1_sp_op_CI_CI, .Lfunc_end0-bluestein_single_fwd_len51_dim1_sp_op_CI_CI
                                        ; -- End function
	.section	.AMDGPU.csdata,"",@progbits
; Kernel info:
; codeLenInByte = 14384
; NumSgprs: 17
; NumVgprs: 183
; ScratchSize: 0
; MemoryBound: 0
; FloatMode: 240
; IeeeMode: 1
; LDSByteSize: 6120 bytes/workgroup (compile time only)
; SGPRBlocks: 2
; VGPRBlocks: 22
; NumSGPRsForWavesPerEU: 17
; NumVGPRsForWavesPerEU: 183
; Occupancy: 5
; WaveLimiterHint : 1
; COMPUTE_PGM_RSRC2:SCRATCH_EN: 0
; COMPUTE_PGM_RSRC2:USER_SGPR: 6
; COMPUTE_PGM_RSRC2:TRAP_HANDLER: 0
; COMPUTE_PGM_RSRC2:TGID_X_EN: 1
; COMPUTE_PGM_RSRC2:TGID_Y_EN: 0
; COMPUTE_PGM_RSRC2:TGID_Z_EN: 0
; COMPUTE_PGM_RSRC2:TIDIG_COMP_CNT: 0
	.text
	.p2alignl 6, 3214868480
	.fill 48, 4, 3214868480
	.type	__hip_cuid_1a85f4194546b9b8,@object ; @__hip_cuid_1a85f4194546b9b8
	.section	.bss,"aw",@nobits
	.globl	__hip_cuid_1a85f4194546b9b8
__hip_cuid_1a85f4194546b9b8:
	.byte	0                               ; 0x0
	.size	__hip_cuid_1a85f4194546b9b8, 1

	.ident	"AMD clang version 19.0.0git (https://github.com/RadeonOpenCompute/llvm-project roc-6.4.0 25133 c7fe45cf4b819c5991fe208aaa96edf142730f1d)"
	.section	".note.GNU-stack","",@progbits
	.addrsig
	.addrsig_sym __hip_cuid_1a85f4194546b9b8
	.amdgpu_metadata
---
amdhsa.kernels:
  - .args:
      - .actual_access:  read_only
        .address_space:  global
        .offset:         0
        .size:           8
        .value_kind:     global_buffer
      - .actual_access:  read_only
        .address_space:  global
        .offset:         8
        .size:           8
        .value_kind:     global_buffer
      - .actual_access:  read_only
        .address_space:  global
        .offset:         16
        .size:           8
        .value_kind:     global_buffer
      - .actual_access:  read_only
        .address_space:  global
        .offset:         24
        .size:           8
        .value_kind:     global_buffer
      - .actual_access:  read_only
        .address_space:  global
        .offset:         32
        .size:           8
        .value_kind:     global_buffer
      - .offset:         40
        .size:           8
        .value_kind:     by_value
      - .address_space:  global
        .offset:         48
        .size:           8
        .value_kind:     global_buffer
      - .address_space:  global
        .offset:         56
        .size:           8
        .value_kind:     global_buffer
      - .address_space:  global
        .offset:         64
        .size:           8
        .value_kind:     global_buffer
      - .address_space:  global
        .offset:         72
        .size:           8
        .value_kind:     global_buffer
      - .offset:         80
        .size:           4
        .value_kind:     by_value
      - .address_space:  global
        .offset:         88
        .size:           8
        .value_kind:     global_buffer
      - .address_space:  global
        .offset:         96
        .size:           8
        .value_kind:     global_buffer
    .group_segment_fixed_size: 6120
    .kernarg_segment_align: 8
    .kernarg_segment_size: 104
    .language:       OpenCL C
    .language_version:
      - 2
      - 0
    .max_flat_workgroup_size: 255
    .name:           bluestein_single_fwd_len51_dim1_sp_op_CI_CI
    .private_segment_fixed_size: 0
    .sgpr_count:     17
    .sgpr_spill_count: 0
    .symbol:         bluestein_single_fwd_len51_dim1_sp_op_CI_CI.kd
    .uniform_work_group_size: 1
    .uses_dynamic_stack: false
    .vgpr_count:     183
    .vgpr_spill_count: 0
    .wavefront_size: 32
    .workgroup_processor_mode: 1
amdhsa.target:   amdgcn-amd-amdhsa--gfx1030
amdhsa.version:
  - 1
  - 2
...

	.end_amdgpu_metadata
